;; amdgpu-corpus repo=ROCm/rocFFT kind=compiled arch=gfx1030 opt=O3
	.text
	.amdgcn_target "amdgcn-amd-amdhsa--gfx1030"
	.amdhsa_code_object_version 6
	.protected	bluestein_single_back_len187_dim1_dp_op_CI_CI ; -- Begin function bluestein_single_back_len187_dim1_dp_op_CI_CI
	.globl	bluestein_single_back_len187_dim1_dp_op_CI_CI
	.p2align	8
	.type	bluestein_single_back_len187_dim1_dp_op_CI_CI,@function
bluestein_single_back_len187_dim1_dp_op_CI_CI: ; @bluestein_single_back_len187_dim1_dp_op_CI_CI
; %bb.0:
	s_mov_b64 s[62:63], s[2:3]
	s_mov_b64 s[60:61], s[0:1]
	s_load_dwordx4 s[0:3], s[4:5], 0x28
	v_mul_u32_u24_e32 v1, 0xf10, v0
	s_add_u32 s60, s60, s7
	s_addc_u32 s61, s61, 0
	v_lshrrev_b32_e32 v1, 16, v1
	v_mad_u64_u32 v[120:121], null, s6, 7, v[1:2]
	v_mov_b32_e32 v121, 0
	s_waitcnt lgkmcnt(0)
	v_cmp_gt_u64_e32 vcc_lo, s[0:1], v[120:121]
	s_and_saveexec_b32 s0, vcc_lo
	s_cbranch_execz .LBB0_15
; %bb.1:
	v_mul_hi_u32 v2, 0x24924925, v120
	v_mul_lo_u16 v1, v1, 17
	s_clause 0x1
	s_load_dwordx2 s[12:13], s[4:5], 0x0
	s_load_dwordx2 s[14:15], s[4:5], 0x38
	v_sub_nc_u16 v0, v0, v1
	v_sub_nc_u32_e32 v3, v120, v2
	v_cmp_gt_u16_e32 vcc_lo, 11, v0
	v_lshrrev_b32_e32 v3, 1, v3
	v_add_nc_u32_e32 v2, v3, v2
	v_lshrrev_b32_e32 v2, 2, v2
	v_mul_lo_u32 v2, v2, 7
	v_sub_nc_u32_e32 v1, v120, v2
	v_and_b32_e32 v2, 0xffff, v0
	v_mul_u32_u24_e32 v1, 0xbb, v1
	v_lshlrev_b32_e32 v255, 4, v2
	v_lshlrev_b32_e32 v0, 4, v1
	buffer_store_dword v1, off, s[60:63], 0 offset:4 ; 4-byte Folded Spill
	buffer_store_dword v0, off, s[60:63], 0 offset:8 ; 4-byte Folded Spill
	buffer_store_dword v2, off, s[60:63], 0 ; 4-byte Folded Spill
	v_or_b32_e32 v0, 0xb0, v2
	buffer_store_dword v0, off, s[60:63], 0 offset:12 ; 4-byte Folded Spill
	s_and_saveexec_b32 s1, vcc_lo
	s_cbranch_execz .LBB0_3
; %bb.2:
	s_load_dwordx2 s[6:7], s[4:5], 0x18
	s_waitcnt lgkmcnt(0)
	v_add_co_u32 v45, s0, s12, v255
	v_add_co_ci_u32_e64 v46, null, s13, 0, s0
	v_add_co_u32 v129, s0, 0x800, v45
	v_add_co_ci_u32_e64 v130, s0, 0, v46, s0
	s_load_dwordx4 s[8:11], s[6:7], 0x0
	s_clause 0x9
	global_load_dwordx4 v[0:3], v255, s[12:13] offset:176
	global_load_dwordx4 v[4:7], v255, s[12:13] offset:352
	;; [unrolled: 1-line block ×10, first 2 shown]
	buffer_load_dword v153, off, s[60:63], 0 ; 4-byte Folded Reload
	global_load_dwordx4 v[40:43], v255, s[12:13] offset:1936
	s_waitcnt lgkmcnt(0)
	v_mad_u64_u32 v[60:61], null, s10, v120, 0
	s_mul_i32 s6, s9, 0xb0
	s_mul_hi_u32 s7, s8, 0xb0
	s_add_i32 s7, s7, s6
	v_mov_b32_e32 v44, v61
	s_waitcnt vmcnt(1)
	v_mad_u64_u32 v[62:63], null, s8, v153, 0
	v_or_b32_e32 v68, 0xb0, v153
	v_lshlrev_b32_e32 v48, 4, v68
	v_mov_b32_e32 v45, v63
	v_mad_u64_u32 v[63:64], null, s11, v120, v[44:45]
	v_mad_u64_u32 v[66:67], null, s9, v153, v[45:46]
	;; [unrolled: 1-line block ×3, first 2 shown]
	s_mulk_i32 s8, 0xb0
	s_clause 0x3
	global_load_dwordx4 v[44:47], v255, s[12:13]
	global_load_dwordx4 v[48:51], v48, s[12:13]
	global_load_dwordx4 v[52:55], v[129:130], off offset:64
	global_load_dwordx4 v[56:59], v[129:130], off offset:240
	v_mov_b32_e32 v61, v63
	v_mov_b32_e32 v63, v66
	v_mad_u64_u32 v[65:66], null, s9, v68, v[65:66]
	v_lshlrev_b64 v[60:61], 4, v[60:61]
	v_lshlrev_b64 v[62:63], 4, v[62:63]
	v_add_co_u32 v70, s0, s2, v60
	v_add_co_ci_u32_e64 v71, s0, s3, v61, s0
	v_lshlrev_b64 v[60:61], 4, v[64:65]
	v_add_co_u32 v66, s0, v70, v62
	v_add_co_ci_u32_e64 v67, s0, v71, v63, s0
	v_add_co_u32 v68, s0, v66, s8
	v_add_co_ci_u32_e64 v69, s0, s7, v67, s0
	;; [unrolled: 2-line block ×5, first 2 shown]
	s_clause 0x2
	global_load_dwordx4 v[60:63], v[60:61], off
	global_load_dwordx4 v[64:67], v[66:67], off
	;; [unrolled: 1-line block ×3, first 2 shown]
	v_add_co_u32 v80, s0, v76, s8
	v_add_co_ci_u32_e64 v81, s0, s7, v77, s0
	s_clause 0x1
	global_load_dwordx4 v[72:75], v[72:73], off
	global_load_dwordx4 v[76:79], v[76:77], off
	v_add_co_u32 v84, s0, v80, s8
	v_add_co_ci_u32_e64 v85, s0, s7, v81, s0
	global_load_dwordx4 v[80:83], v[80:81], off
	v_add_co_u32 v88, s0, v84, s8
	v_add_co_ci_u32_e64 v89, s0, s7, v85, s0
	global_load_dwordx4 v[84:87], v[84:85], off
	v_add_co_u32 v92, s0, v88, s8
	v_add_co_ci_u32_e64 v93, s0, s7, v89, s0
	global_load_dwordx4 v[88:91], v[88:89], off
	v_add_co_u32 v96, s0, v92, s8
	v_add_co_ci_u32_e64 v97, s0, s7, v93, s0
	global_load_dwordx4 v[92:95], v[92:93], off
	v_add_co_u32 v100, s0, v96, s8
	v_add_co_ci_u32_e64 v101, s0, s7, v97, s0
	global_load_dwordx4 v[96:99], v[96:97], off
	v_add_co_u32 v104, s0, v100, s8
	v_add_co_ci_u32_e64 v105, s0, s7, v101, s0
	global_load_dwordx4 v[100:103], v[100:101], off
	v_add_co_u32 v108, s0, v104, s8
	v_add_co_ci_u32_e64 v109, s0, s7, v105, s0
	global_load_dwordx4 v[104:107], v[104:105], off
	v_add_co_u32 v112, s0, v108, s8
	v_add_co_ci_u32_e64 v113, s0, s7, v109, s0
	global_load_dwordx4 v[108:111], v[108:109], off
	v_add_co_u32 v116, s0, v112, s8
	v_add_co_ci_u32_e64 v117, s0, s7, v113, s0
	global_load_dwordx4 v[112:115], v[112:113], off
	v_add_co_u32 v121, s0, v116, s8
	v_add_co_ci_u32_e64 v122, s0, s7, v117, s0
	v_add_co_u32 v133, s0, v121, s8
	v_add_co_ci_u32_e64 v134, s0, s7, v122, s0
	global_load_dwordx4 v[116:119], v[116:117], off
	global_load_dwordx4 v[121:124], v[121:122], off
	s_clause 0x1
	global_load_dwordx4 v[125:128], v[129:130], off offset:416
	global_load_dwordx4 v[129:132], v[129:130], off offset:592
	global_load_dwordx4 v[133:136], v[133:134], off
	s_waitcnt vmcnt(17)
	v_mul_f64 v[137:138], v[66:67], v[46:47]
	v_mul_f64 v[46:47], v[64:65], v[46:47]
	s_waitcnt vmcnt(16)
	v_mul_f64 v[141:142], v[70:71], v[2:3]
	v_mul_f64 v[143:144], v[68:69], v[2:3]
	v_mul_f64 v[139:140], v[62:63], v[50:51]
	s_waitcnt vmcnt(15)
	v_mul_f64 v[145:146], v[74:75], v[6:7]
	v_mul_f64 v[6:7], v[72:73], v[6:7]
	s_waitcnt vmcnt(14)
	v_mul_f64 v[147:148], v[78:79], v[10:11]
	v_mul_f64 v[10:11], v[76:77], v[10:11]
	;; [unrolled: 1-line block ×3, first 2 shown]
	s_waitcnt vmcnt(13)
	v_mul_f64 v[149:150], v[82:83], v[14:15]
	v_mul_f64 v[14:15], v[80:81], v[14:15]
	s_waitcnt vmcnt(12)
	v_mul_f64 v[50:51], v[86:87], v[18:19]
	v_mul_f64 v[18:19], v[84:85], v[18:19]
	v_fma_f64 v[64:65], v[64:65], v[44:45], v[137:138]
	v_fma_f64 v[66:67], v[66:67], v[44:45], -v[46:47]
	v_fma_f64 v[44:45], v[68:69], v[0:1], v[141:142]
	v_fma_f64 v[46:47], v[70:71], v[0:1], -v[143:144]
	s_waitcnt vmcnt(11)
	v_mul_f64 v[0:1], v[90:91], v[22:23]
	v_mul_f64 v[22:23], v[88:89], v[22:23]
	v_fma_f64 v[70:71], v[74:75], v[4:5], -v[6:7]
	v_fma_f64 v[6:7], v[76:77], v[8:9], v[147:148]
	v_fma_f64 v[8:9], v[78:79], v[8:9], -v[10:11]
	v_fma_f64 v[68:69], v[72:73], v[4:5], v[145:146]
	s_waitcnt vmcnt(10)
	v_mul_f64 v[4:5], v[94:95], v[26:27]
	v_fma_f64 v[10:11], v[80:81], v[12:13], v[149:150]
	v_fma_f64 v[12:13], v[82:83], v[12:13], -v[14:15]
	v_mul_f64 v[26:27], v[92:93], v[26:27]
	v_fma_f64 v[2:3], v[60:61], v[48:49], v[139:140]
	s_waitcnt vmcnt(9)
	v_mul_f64 v[60:61], v[98:99], v[30:31]
	v_fma_f64 v[14:15], v[84:85], v[16:17], v[50:51]
	v_fma_f64 v[16:17], v[86:87], v[16:17], -v[18:19]
	v_mul_f64 v[30:31], v[96:97], v[30:31]
	s_waitcnt vmcnt(8)
	v_mul_f64 v[72:73], v[102:103], v[34:35]
	v_mul_f64 v[34:35], v[100:101], v[34:35]
	s_waitcnt vmcnt(7)
	v_mul_f64 v[74:75], v[106:107], v[38:39]
	;; [unrolled: 3-line block ×3, first 2 shown]
	v_mul_f64 v[42:43], v[108:109], v[42:43]
	v_fma_f64 v[18:19], v[88:89], v[20:21], v[0:1]
	buffer_load_dword v0, off, s[60:63], 0 offset:4 ; 4-byte Folded Reload
	v_fma_f64 v[20:21], v[90:91], v[20:21], -v[22:23]
	s_waitcnt vmcnt(6)
	v_mul_f64 v[78:79], v[114:115], v[54:55]
	v_mul_f64 v[54:55], v[112:113], v[54:55]
	v_fma_f64 v[22:23], v[92:93], v[24:25], v[4:5]
	v_fma_f64 v[4:5], v[62:63], v[48:49], -v[151:152]
	s_waitcnt vmcnt(5)
	v_mul_f64 v[80:81], v[118:119], v[58:59]
	v_mul_f64 v[58:59], v[116:117], v[58:59]
	s_waitcnt vmcnt(3)
	v_mul_f64 v[82:83], v[123:124], v[127:128]
	v_mul_f64 v[127:128], v[121:122], v[127:128]
	;; [unrolled: 3-line block ×3, first 2 shown]
	v_fma_f64 v[24:25], v[94:95], v[24:25], -v[26:27]
	v_fma_f64 v[26:27], v[96:97], v[28:29], v[60:61]
	v_fma_f64 v[28:29], v[98:99], v[28:29], -v[30:31]
	v_fma_f64 v[30:31], v[100:101], v[32:33], v[72:73]
	v_fma_f64 v[32:33], v[102:103], v[32:33], -v[34:35]
	v_fma_f64 v[34:35], v[104:105], v[36:37], v[74:75]
	v_fma_f64 v[36:37], v[106:107], v[36:37], -v[38:39]
	v_fma_f64 v[38:39], v[108:109], v[40:41], v[76:77]
	v_fma_f64 v[40:41], v[110:111], v[40:41], -v[42:43]
	v_fma_f64 v[50:51], v[112:113], v[52:53], v[78:79]
	v_fma_f64 v[52:53], v[114:115], v[52:53], -v[54:55]
	v_fma_f64 v[54:55], v[116:117], v[56:57], v[80:81]
	v_fma_f64 v[56:57], v[118:119], v[56:57], -v[58:59]
	v_fma_f64 v[58:59], v[121:122], v[125:126], v[82:83]
	v_fma_f64 v[60:61], v[123:124], v[125:126], -v[127:128]
	v_fma_f64 v[72:73], v[133:134], v[129:130], v[137:138]
	v_fma_f64 v[74:75], v[135:136], v[129:130], -v[131:132]
	s_waitcnt vmcnt(0)
	v_lshlrev_b32_e32 v1, 4, v0
	v_lshl_add_u32 v0, v153, 4, v1
	v_add_nc_u32_e32 v1, v1, v255
	ds_write_b128 v0, v[64:67]
	ds_write_b128 v1, v[44:47] offset:176
	ds_write_b128 v1, v[68:71] offset:352
	;; [unrolled: 1-line block ×16, first 2 shown]
.LBB0_3:
	s_or_b32 exec_lo, exec_lo, s1
	s_clause 0x1
	s_load_dwordx2 s[2:3], s[4:5], 0x20
	s_load_dwordx2 s[0:1], s[4:5], 0x8
	s_waitcnt lgkmcnt(0)
	s_waitcnt_vscnt null, 0x0
	s_barrier
	buffer_gl0_inv
                                        ; implicit-def: $vgpr28_vgpr29
                                        ; implicit-def: $vgpr44_vgpr45
                                        ; implicit-def: $vgpr48_vgpr49
                                        ; implicit-def: $vgpr52_vgpr53
                                        ; implicit-def: $vgpr56_vgpr57
                                        ; implicit-def: $vgpr60_vgpr61
                                        ; implicit-def: $vgpr64_vgpr65
                                        ; implicit-def: $vgpr72_vgpr73
                                        ; implicit-def: $vgpr76_vgpr77
                                        ; implicit-def: $vgpr80_vgpr81
                                        ; implicit-def: $vgpr84_vgpr85
                                        ; implicit-def: $vgpr88_vgpr89
                                        ; implicit-def: $vgpr68_vgpr69
                                        ; implicit-def: $vgpr40_vgpr41
                                        ; implicit-def: $vgpr36_vgpr37
                                        ; implicit-def: $vgpr32_vgpr33
                                        ; implicit-def: $vgpr24_vgpr25
	s_and_saveexec_b32 s4, vcc_lo
	s_cbranch_execz .LBB0_5
; %bb.4:
	buffer_load_dword v0, off, s[60:63], 0 offset:4 ; 4-byte Folded Reload
	s_waitcnt vmcnt(0)
	v_lshl_add_u32 v0, v0, 4, v255
	ds_read_b128 v[28:31], v0
	ds_read_b128 v[44:47], v0 offset:176
	ds_read_b128 v[48:51], v0 offset:352
	;; [unrolled: 1-line block ×16, first 2 shown]
.LBB0_5:
	s_or_b32 exec_lo, exec_lo, s4
	s_waitcnt lgkmcnt(0)
	v_add_f64 v[155:156], v[46:47], -v[26:27]
	v_add_f64 v[209:210], v[44:45], -v[24:25]
	s_mov_b32 s6, 0x5d8e7cdc
	s_mov_b32 s7, 0xbfd71e95
	v_add_f64 v[100:101], v[50:51], -v[34:35]
	v_add_f64 v[163:164], v[48:49], -v[32:33]
	s_mov_b32 s34, 0x2a9d6da3
	s_mov_b32 s35, 0xbfe58eea
	;; [unrolled: 4-line block ×4, first 2 shown]
	v_add_f64 v[147:148], v[44:45], v[24:25]
	v_add_f64 v[199:200], v[46:47], v[26:27]
	s_mov_b32 s4, 0x370991
	s_mov_b32 s5, 0x3fedd6d0
	v_add_f64 v[92:93], v[48:49], v[32:33]
	v_add_f64 v[157:158], v[50:51], v[34:35]
	v_mul_f64 v[0:1], v[155:156], s[6:7]
	v_mul_f64 v[2:3], v[209:210], s[6:7]
	s_mov_b32 s8, 0x75d4884
	s_mov_b32 s9, 0x3fe7a5f6
	v_mul_f64 v[4:5], v[100:101], s[34:35]
	v_mul_f64 v[6:7], v[163:164], s[34:35]
	v_add_f64 v[127:128], v[54:55], v[38:39]
	s_mov_b32 s22, 0x2b2883cd
	v_mul_f64 v[8:9], v[145:146], s[40:41]
	v_mul_f64 v[14:15], v[193:194], s[40:41]
	s_mov_b32 s23, 0x3fdc86fa
	v_add_f64 v[129:130], v[58:59], v[42:43]
	v_mul_f64 v[10:11], v[161:162], s[10:11]
	v_mul_f64 v[12:13], v[229:230], s[10:11]
	s_mov_b32 s16, 0x3259b75e
	s_mov_b32 s17, 0x3fb79ee6
	v_add_f64 v[169:170], v[62:63], -v[70:71]
	s_mov_b32 s20, 0x923c349f
	s_mov_b32 s21, 0xbfeec746
	v_add_f64 v[94:95], v[52:53], v[36:37]
	v_add_f64 v[110:111], v[56:57], v[40:41]
	;; [unrolled: 1-line block ×3, first 2 shown]
	buffer_store_dword v0, off, s[60:63], 0 offset:200 ; 4-byte Folded Spill
	buffer_store_dword v1, off, s[60:63], 0 offset:204 ; 4-byte Folded Spill
	;; [unrolled: 1-line block ×16, first 2 shown]
	s_mov_b32 s18, 0xc61f0d01
	s_mov_b32 s19, 0xbfd183b1
	v_add_f64 v[241:242], v[60:61], -v[68:69]
	v_add_f64 v[151:152], v[62:63], v[70:71]
	v_add_f64 v[171:172], v[66:67], -v[90:91]
	s_mov_b32 s36, 0x6c9a05f6
	s_mov_b32 s37, 0xbfe9895b
	v_add_f64 v[123:124], v[64:65], v[88:89]
	s_mov_b32 s24, 0x6ed5f1bb
	s_mov_b32 s25, 0xbfe348c8
	v_add_f64 v[249:250], v[64:65], -v[88:89]
	v_add_f64 v[139:140], v[66:67], v[90:91]
	v_add_f64 v[173:174], v[74:75], -v[86:87]
	s_mov_b32 s50, 0x4363dd80
	s_mov_b32 s51, 0x3fe0d888
	;; [unrolled: 1-line block ×4, first 2 shown]
	v_add_f64 v[106:107], v[72:73], v[84:85]
	s_mov_b32 s26, 0x910ea3b9
	s_mov_b32 s27, 0xbfeb34fa
	v_add_f64 v[253:254], v[72:73], -v[84:85]
	v_add_f64 v[114:115], v[74:75], v[86:87]
	v_add_f64 v[112:113], v[78:79], -v[82:83]
	s_mov_b32 s38, 0xacd6c6b4
	s_mov_b32 s39, 0xbfc7851a
	v_add_f64 v[102:103], v[76:77], v[80:81]
	s_mov_b32 s28, 0x7faef3
	s_mov_b32 s29, 0xbfef7484
	v_add_f64 v[104:105], v[76:77], -v[80:81]
	v_add_f64 v[121:122], v[78:79], v[82:83]
	v_mul_f64 v[165:166], v[155:156], s[34:35]
	v_mul_f64 v[167:168], v[209:210], s[34:35]
	s_mov_b32 s31, 0x3feec746
	s_mov_b32 s30, s20
	;; [unrolled: 1-line block ×6, first 2 shown]
	v_mul_f64 v[189:190], v[155:156], s[40:41]
	v_mul_f64 v[96:97], v[100:101], s[36:37]
	;; [unrolled: 1-line block ×4, first 2 shown]
	s_mov_b32 s57, 0x3fc7851a
	s_mov_b32 s56, s38
	v_mul_f64 v[118:119], v[229:230], s[30:31]
	v_mul_f64 v[98:99], v[145:146], s[56:57]
	;; [unrolled: 1-line block ×3, first 2 shown]
	s_mov_b32 s49, 0x3fe58eea
	s_mov_b32 s48, s34
	v_mul_f64 v[205:206], v[155:156], s[10:11]
	v_mul_f64 v[125:126], v[241:242], s[48:49]
	;; [unrolled: 1-line block ×11, first 2 shown]
	s_mov_b32 s55, 0x3fe9895b
	s_mov_b32 s54, s36
	v_mul_f64 v[237:238], v[155:156], s[20:21]
	v_mul_f64 v[175:176], v[100:101], s[50:51]
	;; [unrolled: 1-line block ×10, first 2 shown]
	s_mov_b32 s45, 0x3fefdd0d
	s_mov_b32 s44, s10
	v_mul_f64 v[243:244], v[155:156], s[36:37]
	v_fma_f64 v[16:17], v[157:158], s[28:29], -v[141:142]
	v_mul_f64 v[251:252], v[171:172], s[44:45]
	v_mul_f64 v[197:198], v[249:250], s[44:45]
	;; [unrolled: 1-line block ×9, first 2 shown]
	v_fma_f64 v[18:19], v[92:93], s[26:27], v[175:176]
	v_mul_f64 v[233:234], v[253:254], s[38:39]
	v_fma_f64 v[20:21], v[157:158], s[26:27], -v[181:182]
	v_fma_f64 v[22:23], v[92:93], s[18:19], v[201:202]
	v_fma_f64 v[203:204], v[157:158], s[18:19], -v[211:212]
	v_fma_f64 v[0:1], v[147:148], s[4:5], v[0:1]
	;; [unrolled: 2-line block ×4, first 2 shown]
	v_add_f64 v[0:1], v[28:29], v[0:1]
	v_add_f64 v[2:3], v[30:31], v[2:3]
	;; [unrolled: 1-line block ×4, first 2 shown]
	v_fma_f64 v[4:5], v[127:128], s[22:23], -v[14:15]
	v_fma_f64 v[6:7], v[110:111], s[16:17], v[10:11]
	v_fma_f64 v[10:11], v[92:93], s[24:25], v[96:97]
	;; [unrolled: 1-line block ×3, first 2 shown]
	v_add_f64 v[0:1], v[8:9], v[0:1]
	v_mul_f64 v[8:9], v[163:164], s[10:11]
	v_add_f64 v[2:3], v[4:5], v[2:3]
	v_fma_f64 v[4:5], v[129:130], s[16:17], -v[12:13]
	v_fma_f64 v[12:13], v[157:158], s[24:25], -v[108:109]
	v_add_f64 v[0:1], v[6:7], v[0:1]
	v_mul_f64 v[6:7], v[100:101], s[10:11]
	v_add_f64 v[2:3], v[4:5], v[2:3]
	v_mul_f64 v[4:5], v[169:170], s[20:21]
	buffer_store_dword v4, off, s[60:63], 0 offset:80 ; 4-byte Folded Spill
	buffer_store_dword v5, off, s[60:63], 0 offset:84 ; 4-byte Folded Spill
	v_fma_f64 v[4:5], v[135:136], s[18:19], v[4:5]
	v_add_f64 v[0:1], v[4:5], v[0:1]
	v_mul_f64 v[4:5], v[241:242], s[20:21]
	buffer_store_dword v4, off, s[60:63], 0 offset:112 ; 4-byte Folded Spill
	buffer_store_dword v5, off, s[60:63], 0 offset:116 ; 4-byte Folded Spill
	v_fma_f64 v[4:5], v[151:152], s[18:19], -v[4:5]
	v_add_f64 v[2:3], v[4:5], v[2:3]
	v_mul_f64 v[4:5], v[171:172], s[36:37]
	buffer_store_dword v4, off, s[60:63], 0 offset:56 ; 4-byte Folded Spill
	buffer_store_dword v5, off, s[60:63], 0 offset:60 ; 4-byte Folded Spill
	v_fma_f64 v[4:5], v[123:124], s[24:25], v[4:5]
	v_add_f64 v[0:1], v[4:5], v[0:1]
	v_mul_f64 v[4:5], v[249:250], s[36:37]
	buffer_store_dword v4, off, s[60:63], 0 offset:88 ; 4-byte Folded Spill
	buffer_store_dword v5, off, s[60:63], 0 offset:92 ; 4-byte Folded Spill
	v_fma_f64 v[4:5], v[139:140], s[24:25], -v[4:5]
	;; [unrolled: 10-line block ×3, first 2 shown]
	v_add_f64 v[2:3], v[4:5], v[2:3]
	v_mul_f64 v[4:5], v[112:113], s[38:39]
	buffer_store_dword v4, off, s[60:63], 0 offset:72 ; 4-byte Folded Spill
	buffer_store_dword v5, off, s[60:63], 0 offset:76 ; 4-byte Folded Spill
	v_fma_f64 v[4:5], v[102:103], s[28:29], v[4:5]
	v_add_f64 v[0:1], v[4:5], v[0:1]
	v_mul_f64 v[4:5], v[104:105], s[38:39]
	buffer_store_dword v4, off, s[60:63], 0 offset:104 ; 4-byte Folded Spill
	buffer_store_dword v5, off, s[60:63], 0 offset:108 ; 4-byte Folded Spill
	;; [unrolled: 1-line block ×6, first 2 shown]
	v_fma_f64 v[4:5], v[121:122], s[28:29], -v[4:5]
	v_fma_f64 v[6:7], v[92:93], s[16:17], v[6:7]
	v_fma_f64 v[8:9], v[157:158], s[16:17], -v[8:9]
	v_add_f64 v[2:3], v[4:5], v[2:3]
	v_fma_f64 v[4:5], v[147:148], s[8:9], v[165:166]
	v_add_f64 v[4:5], v[28:29], v[4:5]
	v_add_f64 v[4:5], v[6:7], v[4:5]
	v_fma_f64 v[6:7], v[199:200], s[8:9], -v[167:168]
	v_add_f64 v[6:7], v[30:31], v[6:7]
	v_add_f64 v[6:7], v[8:9], v[6:7]
	v_mul_f64 v[8:9], v[145:146], s[36:37]
	buffer_store_dword v8, off, s[60:63], 0 offset:232 ; 4-byte Folded Spill
	buffer_store_dword v9, off, s[60:63], 0 offset:236 ; 4-byte Folded Spill
	v_fma_f64 v[8:9], v[94:95], s[24:25], v[8:9]
	v_add_f64 v[4:5], v[8:9], v[4:5]
	v_mul_f64 v[8:9], v[193:194], s[36:37]
	buffer_store_dword v8, off, s[60:63], 0 offset:248 ; 4-byte Folded Spill
	buffer_store_dword v9, off, s[60:63], 0 offset:252 ; 4-byte Folded Spill
	v_fma_f64 v[8:9], v[127:128], s[24:25], -v[8:9]
	v_add_f64 v[6:7], v[8:9], v[6:7]
	v_mul_f64 v[8:9], v[161:162], s[38:39]
	buffer_store_dword v8, off, s[60:63], 0 offset:216 ; 4-byte Folded Spill
	buffer_store_dword v9, off, s[60:63], 0 offset:220 ; 4-byte Folded Spill
	v_fma_f64 v[8:9], v[110:111], s[28:29], v[8:9]
	v_add_f64 v[4:5], v[8:9], v[4:5]
	v_mul_f64 v[8:9], v[229:230], s[38:39]
	buffer_store_dword v8, off, s[60:63], 0 offset:224 ; 4-byte Folded Spill
	buffer_store_dword v9, off, s[60:63], 0 offset:228 ; 4-byte Folded Spill
	v_fma_f64 v[8:9], v[129:130], s[28:29], -v[8:9]
	;; [unrolled: 10-line block ×6, first 2 shown]
	v_add_f64 v[6:7], v[8:9], v[6:7]
	v_fma_f64 v[8:9], v[147:148], s[22:23], v[189:190]
	v_add_f64 v[8:9], v[28:29], v[8:9]
	v_add_f64 v[8:9], v[10:11], v[8:9]
	v_fma_f64 v[10:11], v[199:200], s[22:23], -v[195:196]
	v_add_f64 v[10:11], v[30:31], v[10:11]
	v_add_f64 v[10:11], v[12:13], v[10:11]
	v_fma_f64 v[12:13], v[94:95], s[28:29], v[98:99]
	v_add_f64 v[8:9], v[12:13], v[8:9]
	v_fma_f64 v[12:13], v[127:128], s[28:29], -v[116:117]
	v_add_f64 v[10:11], v[12:13], v[10:11]
	v_mul_f64 v[12:13], v[161:162], s[30:31]
	buffer_store_dword v12, off, s[60:63], 0 offset:304 ; 4-byte Folded Spill
	buffer_store_dword v13, off, s[60:63], 0 offset:308 ; 4-byte Folded Spill
	v_fma_f64 v[12:13], v[110:111], s[18:19], v[12:13]
	v_add_f64 v[8:9], v[12:13], v[8:9]
	v_fma_f64 v[12:13], v[129:130], s[18:19], -v[118:119]
	v_add_f64 v[10:11], v[12:13], v[10:11]
	v_mul_f64 v[12:13], v[169:170], s[48:49]
	buffer_store_dword v12, off, s[60:63], 0 offset:296 ; 4-byte Folded Spill
	buffer_store_dword v13, off, s[60:63], 0 offset:300 ; 4-byte Folded Spill
	;; [unrolled: 7-line block ×3, first 2 shown]
	v_fma_f64 v[12:13], v[123:124], s[4:5], v[12:13]
	v_add_f64 v[8:9], v[12:13], v[8:9]
	v_mul_f64 v[12:13], v[249:250], s[6:7]
	buffer_store_dword v12, off, s[60:63], 0 offset:272 ; 4-byte Folded Spill
	buffer_store_dword v13, off, s[60:63], 0 offset:276 ; 4-byte Folded Spill
	v_fma_f64 v[12:13], v[139:140], s[4:5], -v[12:13]
	v_add_f64 v[10:11], v[12:13], v[10:11]
	v_mul_f64 v[12:13], v[173:174], s[10:11]
	buffer_store_dword v12, off, s[60:63], 0 offset:240 ; 4-byte Folded Spill
	buffer_store_dword v13, off, s[60:63], 0 offset:244 ; 4-byte Folded Spill
	v_fma_f64 v[12:13], v[106:107], s[16:17], v[12:13]
	v_add_f64 v[8:9], v[12:13], v[8:9]
	v_mul_f64 v[12:13], v[253:254], s[10:11]
	buffer_store_dword v12, off, s[60:63], 0 offset:256 ; 4-byte Folded Spill
	buffer_store_dword v13, off, s[60:63], 0 offset:260 ; 4-byte Folded Spill
	v_fma_f64 v[12:13], v[114:115], s[16:17], -v[12:13]
	v_add_f64 v[10:11], v[12:13], v[10:11]
	v_mul_f64 v[12:13], v[112:113], s[42:43]
	buffer_store_dword v12, off, s[60:63], 0 offset:176 ; 4-byte Folded Spill
	buffer_store_dword v13, off, s[60:63], 0 offset:180 ; 4-byte Folded Spill
	v_fma_f64 v[12:13], v[102:103], s[26:27], v[12:13]
	v_add_f64 v[8:9], v[12:13], v[8:9]
	v_mul_f64 v[12:13], v[104:105], s[42:43]
	buffer_store_dword v12, off, s[60:63], 0 offset:192 ; 4-byte Folded Spill
	buffer_store_dword v13, off, s[60:63], 0 offset:196 ; 4-byte Folded Spill
	v_fma_f64 v[12:13], v[121:122], s[26:27], -v[12:13]
	v_add_f64 v[10:11], v[12:13], v[10:11]
	v_fma_f64 v[12:13], v[147:148], s[16:17], v[205:206]
	v_add_f64 v[12:13], v[28:29], v[12:13]
	v_add_f64 v[12:13], v[14:15], v[12:13]
	v_fma_f64 v[14:15], v[199:200], s[16:17], -v[213:214]
	v_add_f64 v[14:15], v[30:31], v[14:15]
	v_add_f64 v[14:15], v[16:17], v[14:15]
	v_fma_f64 v[16:17], v[94:95], s[18:19], v[133:134]
	v_add_f64 v[12:13], v[16:17], v[12:13]
	v_fma_f64 v[16:17], v[127:128], s[18:19], -v[143:144]
	v_add_f64 v[14:15], v[16:17], v[14:15]
	v_fma_f64 v[16:17], v[110:111], s[4:5], v[137:138]
	v_add_f64 v[12:13], v[16:17], v[12:13]
	v_fma_f64 v[16:17], v[129:130], s[4:5], -v[153:154]
	;; [unrolled: 4-line block ×3, first 2 shown]
	v_add_f64 v[14:15], v[16:17], v[14:15]
	v_mul_f64 v[16:17], v[171:172], s[42:43]
	buffer_store_dword v16, off, s[60:63], 0 offset:336 ; 4-byte Folded Spill
	buffer_store_dword v17, off, s[60:63], 0 offset:340 ; 4-byte Folded Spill
	v_fma_f64 v[16:17], v[123:124], s[26:27], v[16:17]
	v_add_f64 v[12:13], v[16:17], v[12:13]
	v_mul_f64 v[16:17], v[249:250], s[42:43]
	buffer_store_dword v16, off, s[60:63], 0 offset:344 ; 4-byte Folded Spill
	buffer_store_dword v17, off, s[60:63], 0 offset:348 ; 4-byte Folded Spill
	v_fma_f64 v[16:17], v[139:140], s[26:27], -v[16:17]
	v_add_f64 v[14:15], v[16:17], v[14:15]
	v_mul_f64 v[16:17], v[173:174], s[54:55]
	buffer_store_dword v16, off, s[60:63], 0 offset:312 ; 4-byte Folded Spill
	buffer_store_dword v17, off, s[60:63], 0 offset:316 ; 4-byte Folded Spill
	v_fma_f64 v[16:17], v[106:107], s[24:25], v[16:17]
	v_add_f64 v[12:13], v[16:17], v[12:13]
	v_mul_f64 v[16:17], v[253:254], s[54:55]
	buffer_store_dword v16, off, s[60:63], 0 offset:328 ; 4-byte Folded Spill
	buffer_store_dword v17, off, s[60:63], 0 offset:332 ; 4-byte Folded Spill
	v_fma_f64 v[16:17], v[114:115], s[24:25], -v[16:17]
	v_add_f64 v[14:15], v[16:17], v[14:15]
	v_mul_f64 v[16:17], v[112:113], s[48:49]
	buffer_store_dword v16, off, s[60:63], 0 offset:280 ; 4-byte Folded Spill
	buffer_store_dword v17, off, s[60:63], 0 offset:284 ; 4-byte Folded Spill
	v_fma_f64 v[16:17], v[102:103], s[8:9], v[16:17]
	v_add_f64 v[12:13], v[16:17], v[12:13]
	v_mul_f64 v[16:17], v[104:105], s[48:49]
	buffer_store_dword v16, off, s[60:63], 0 offset:288 ; 4-byte Folded Spill
	buffer_store_dword v17, off, s[60:63], 0 offset:292 ; 4-byte Folded Spill
	v_fma_f64 v[16:17], v[121:122], s[8:9], -v[16:17]
	v_add_f64 v[14:15], v[16:17], v[14:15]
	v_fma_f64 v[16:17], v[147:148], s[18:19], v[237:238]
	v_add_f64 v[16:17], v[28:29], v[16:17]
	v_add_f64 v[16:17], v[18:19], v[16:17]
	v_fma_f64 v[18:19], v[199:200], s[18:19], -v[239:240]
	v_add_f64 v[18:19], v[30:31], v[18:19]
	v_add_f64 v[18:19], v[20:21], v[18:19]
	v_fma_f64 v[20:21], v[94:95], s[8:9], v[177:178]
	v_add_f64 v[16:17], v[20:21], v[16:17]
	v_fma_f64 v[20:21], v[127:128], s[8:9], -v[185:186]
	v_add_f64 v[18:19], v[20:21], v[18:19]
	v_fma_f64 v[20:21], v[110:111], s[22:23], v[179:180]
	v_add_f64 v[16:17], v[20:21], v[16:17]
	v_fma_f64 v[20:21], v[129:130], s[22:23], -v[187:188]
	;; [unrolled: 4-line block ×4, first 2 shown]
	v_add_f64 v[18:19], v[20:21], v[18:19]
	v_mul_f64 v[20:21], v[173:174], s[6:7]
	buffer_store_dword v20, off, s[60:63], 0 offset:376 ; 4-byte Folded Spill
	buffer_store_dword v21, off, s[60:63], 0 offset:380 ; 4-byte Folded Spill
	v_fma_f64 v[20:21], v[106:107], s[4:5], v[20:21]
	v_add_f64 v[16:17], v[20:21], v[16:17]
	v_mul_f64 v[20:21], v[253:254], s[6:7]
	buffer_store_dword v20, off, s[60:63], 0 offset:392 ; 4-byte Folded Spill
	buffer_store_dword v21, off, s[60:63], 0 offset:396 ; 4-byte Folded Spill
	v_fma_f64 v[20:21], v[114:115], s[4:5], -v[20:21]
	v_add_f64 v[18:19], v[20:21], v[18:19]
	v_mul_f64 v[20:21], v[112:113], s[36:37]
	buffer_store_dword v20, off, s[60:63], 0 offset:352 ; 4-byte Folded Spill
	buffer_store_dword v21, off, s[60:63], 0 offset:356 ; 4-byte Folded Spill
	v_fma_f64 v[20:21], v[102:103], s[24:25], v[20:21]
	v_add_f64 v[16:17], v[20:21], v[16:17]
	v_mul_f64 v[20:21], v[104:105], s[36:37]
	buffer_store_dword v20, off, s[60:63], 0 offset:360 ; 4-byte Folded Spill
	buffer_store_dword v21, off, s[60:63], 0 offset:364 ; 4-byte Folded Spill
	s_waitcnt_vscnt null, 0x0
	s_barrier
	buffer_gl0_inv
	v_fma_f64 v[20:21], v[121:122], s[24:25], -v[20:21]
	v_add_f64 v[18:19], v[20:21], v[18:19]
	v_fma_f64 v[20:21], v[147:148], s[24:25], v[243:244]
	v_add_f64 v[20:21], v[28:29], v[20:21]
	v_add_f64 v[20:21], v[22:23], v[20:21]
	v_fma_f64 v[22:23], v[199:200], s[24:25], -v[245:246]
	v_add_f64 v[22:23], v[30:31], v[22:23]
	v_add_f64 v[22:23], v[203:204], v[22:23]
	v_mul_f64 v[203:204], v[145:146], s[6:7]
	v_fma_f64 v[207:208], v[94:95], s[4:5], v[203:204]
	v_add_f64 v[20:21], v[207:208], v[20:21]
	v_fma_f64 v[207:208], v[127:128], s[4:5], -v[217:218]
	v_add_f64 v[22:23], v[207:208], v[22:23]
	v_mul_f64 v[207:208], v[161:162], s[42:43]
	v_fma_f64 v[215:216], v[110:111], s[26:27], v[207:208]
	v_add_f64 v[20:21], v[215:216], v[20:21]
	v_fma_f64 v[215:216], v[129:130], s[26:27], -v[221:222]
	;; [unrolled: 5-line block ×5, first 2 shown]
	v_add_f64 v[22:23], v[227:228], v[22:23]
	v_mul_f64 v[227:228], v[112:113], s[46:47]
	v_fma_f64 v[235:236], v[102:103], s[22:23], v[227:228]
	v_add_f64 v[20:21], v[235:236], v[20:21]
	v_mul_f64 v[235:236], v[104:105], s[46:47]
	v_fma_f64 v[247:248], v[121:122], s[22:23], -v[235:236]
	v_add_f64 v[22:23], v[247:248], v[22:23]
	s_and_saveexec_b32 s33, vcc_lo
	s_cbranch_execz .LBB0_7
; %bb.6:
	v_add_f64 v[44:45], v[28:29], v[44:45]
	v_add_f64 v[46:47], v[30:31], v[46:47]
	;; [unrolled: 1-line block ×4, first 2 shown]
	v_mul_f64 v[48:49], v[199:200], s[24:25]
	v_mul_f64 v[50:51], v[147:148], s[24:25]
	v_add_f64 v[44:45], v[44:45], v[52:53]
	v_add_f64 v[46:47], v[46:47], v[54:55]
	v_mul_f64 v[52:53], v[199:200], s[18:19]
	v_mul_f64 v[54:55], v[147:148], s[18:19]
	v_add_f64 v[50:51], v[50:51], -v[243:244]
	v_add_f64 v[48:49], v[245:246], v[48:49]
	v_add_f64 v[44:45], v[44:45], v[56:57]
	;; [unrolled: 1-line block ×3, first 2 shown]
	v_mul_f64 v[56:57], v[199:200], s[16:17]
	v_mul_f64 v[58:59], v[147:148], s[16:17]
	v_add_f64 v[54:55], v[54:55], -v[237:238]
	v_mul_f64 v[237:238], v[157:158], s[22:23]
	v_add_f64 v[52:53], v[239:240], v[52:53]
	v_add_f64 v[48:49], v[30:31], v[48:49]
	;; [unrolled: 1-line block ×5, first 2 shown]
	v_mul_f64 v[60:61], v[199:200], s[22:23]
	v_mul_f64 v[62:63], v[147:148], s[22:23]
	v_add_f64 v[56:57], v[213:214], v[56:57]
	v_add_f64 v[58:59], v[58:59], -v[205:206]
	v_fma_f64 v[239:240], v[163:164], s[40:41], v[237:238]
	v_add_f64 v[52:53], v[30:31], v[52:53]
	v_add_f64 v[54:55], v[28:29], v[54:55]
	;; [unrolled: 1-line block ×4, first 2 shown]
	v_mul_f64 v[64:65], v[199:200], s[8:9]
	v_mul_f64 v[66:67], v[147:148], s[8:9]
	v_add_f64 v[62:63], v[62:63], -v[189:190]
	v_mul_f64 v[189:190], v[129:130], s[24:25]
	v_add_f64 v[60:61], v[195:196], v[60:61]
	v_add_f64 v[56:57], v[30:31], v[56:57]
	;; [unrolled: 1-line block ×6, first 2 shown]
	v_add_f64 v[66:67], v[66:67], -v[165:166]
	v_mul_f64 v[165:166], v[129:130], s[8:9]
	v_fma_f64 v[195:196], v[229:230], s[36:37], v[189:190]
	v_fma_f64 v[189:190], v[229:230], s[54:55], v[189:190]
	v_mul_f64 v[72:73], v[155:156], s[42:43]
	v_add_f64 v[62:63], v[28:29], v[62:63]
	v_add_f64 v[60:61], v[30:31], v[60:61]
	v_add_f64 v[44:45], v[44:45], v[76:77]
	v_add_f64 v[46:47], v[46:47], v[78:79]
	v_mul_f64 v[78:79], v[147:148], s[4:5]
	v_add_f64 v[64:65], v[30:31], v[64:65]
	v_fma_f64 v[167:168], v[229:230], s[34:35], v[165:166]
	v_fma_f64 v[165:166], v[229:230], s[48:49], v[165:166]
	v_add_f64 v[66:67], v[28:29], v[66:67]
	v_fma_f64 v[76:77], v[147:148], s[26:27], v[72:73]
	v_fma_f64 v[72:73], v[147:148], s[26:27], -v[72:73]
	v_add_f64 v[44:45], v[44:45], v[80:81]
	v_add_f64 v[46:47], v[46:47], v[82:83]
	;; [unrolled: 1-line block ×6, first 2 shown]
	v_mul_f64 v[84:85], v[139:140], s[28:29]
	v_add_f64 v[44:45], v[44:45], v[88:89]
	v_add_f64 v[46:47], v[46:47], v[90:91]
	v_mul_f64 v[88:89], v[151:152], s[24:25]
	v_fma_f64 v[86:87], v[249:250], s[56:57], v[84:85]
	v_fma_f64 v[84:85], v[249:250], s[38:39], v[84:85]
	v_add_f64 v[44:45], v[44:45], v[68:69]
	v_add_f64 v[46:47], v[46:47], v[70:71]
	v_mul_f64 v[68:69], v[199:200], s[4:5]
	s_clause 0x3
	buffer_load_dword v70, off, s[60:63], 0 offset:320
	buffer_load_dword v71, off, s[60:63], 0 offset:324
	;; [unrolled: 1-line block ×4, first 2 shown]
	v_fma_f64 v[90:91], v[241:242], s[54:55], v[88:89]
	v_fma_f64 v[88:89], v[241:242], s[36:37], v[88:89]
	v_add_f64 v[40:41], v[44:45], v[40:41]
	v_add_f64 v[42:43], v[46:47], v[42:43]
	v_mul_f64 v[44:45], v[199:200], s[26:27]
	v_add_f64 v[36:37], v[40:41], v[36:37]
	v_mul_f64 v[40:41], v[199:200], s[28:29]
	v_add_f64 v[38:39], v[42:43], v[38:39]
	v_fma_f64 v[46:47], v[209:210], s[50:51], v[44:45]
	v_fma_f64 v[44:45], v[209:210], s[42:43], v[44:45]
	v_mul_f64 v[199:200], v[127:128], s[26:27]
	v_add_f64 v[32:33], v[36:37], v[32:33]
	v_fma_f64 v[42:43], v[209:210], s[56:57], v[40:41]
	v_fma_f64 v[40:41], v[209:210], s[38:39], v[40:41]
	;; [unrolled: 4-line block ×3, first 2 shown]
	v_add_f64 v[44:45], v[30:31], v[44:45]
	v_add_f64 v[24:25], v[32:33], v[24:25]
	;; [unrolled: 1-line block ×4, first 2 shown]
	v_fma_f64 v[213:214], v[193:194], s[44:45], v[209:210]
	v_fma_f64 v[193:194], v[193:194], s[10:11], v[209:210]
	v_mul_f64 v[209:210], v[157:158], s[4:5]
	v_add_f64 v[46:47], v[239:240], v[46:47]
	v_fma_f64 v[229:230], v[163:164], s[6:7], v[209:210]
	v_fma_f64 v[209:210], v[163:164], s[52:53], v[209:210]
	v_fma_f64 v[163:164], v[163:164], s[46:47], v[237:238]
	v_mul_f64 v[237:238], v[121:122], s[22:23]
	v_add_f64 v[46:47], v[213:214], v[46:47]
	v_add_f64 v[42:43], v[229:230], v[42:43]
	v_mul_f64 v[229:230], v[100:101], s[52:53]
	v_add_f64 v[40:41], v[209:210], v[40:41]
	v_add_f64 v[235:236], v[235:236], v[237:238]
	v_mul_f64 v[237:238], v[114:115], s[28:29]
	v_mul_f64 v[100:101], v[100:101], s[46:47]
	v_add_f64 v[44:45], v[163:164], v[44:45]
	v_add_f64 v[46:47], v[195:196], v[46:47]
	;; [unrolled: 1-line block ×3, first 2 shown]
	v_fma_f64 v[209:210], v[92:93], s[4:5], -v[229:230]
	v_add_f64 v[40:41], v[199:200], v[40:41]
	v_add_f64 v[233:234], v[233:234], v[237:238]
	v_mul_f64 v[237:238], v[139:140], s[8:9]
	v_add_f64 v[44:45], v[193:194], v[44:45]
	v_add_f64 v[42:43], v[167:168], v[42:43]
	;; [unrolled: 1-line block ×4, first 2 shown]
	v_mul_f64 v[237:238], v[151:152], s[16:17]
	v_add_f64 v[44:45], v[189:190], v[44:45]
	v_add_f64 v[42:43], v[90:91], v[42:43]
	v_mul_f64 v[90:91], v[169:170], s[36:37]
	v_add_f64 v[40:41], v[88:89], v[40:41]
	v_add_f64 v[225:226], v[225:226], v[237:238]
	v_mul_f64 v[237:238], v[129:130], s[26:27]
	v_fma_f64 v[88:89], v[135:136], s[24:25], -v[90:91]
	v_add_f64 v[221:222], v[221:222], v[237:238]
	v_mul_f64 v[237:238], v[127:128], s[4:5]
	v_add_f64 v[217:218], v[217:218], v[237:238]
	v_mul_f64 v[237:238], v[157:158], s[18:19]
	;; [unrolled: 2-line block ×3, first 2 shown]
	v_add_f64 v[48:49], v[211:212], v[48:49]
	v_add_f64 v[227:228], v[237:238], -v[227:228]
	v_mul_f64 v[237:238], v[106:107], s[28:29]
	v_add_f64 v[48:49], v[217:218], v[48:49]
	s_waitcnt vmcnt(2)
	v_add_f64 v[68:69], v[70:71], v[68:69]
	v_add_f64 v[223:224], v[237:238], -v[223:224]
	v_mul_f64 v[237:238], v[123:124], s[8:9]
	v_mul_f64 v[70:71], v[155:156], s[38:39]
	s_waitcnt vmcnt(0)
	v_add_f64 v[78:79], v[78:79], -v[80:81]
	v_mul_f64 v[80:81], v[139:140], s[22:23]
	v_add_f64 v[48:49], v[221:222], v[48:49]
	v_add_f64 v[30:31], v[30:31], v[68:69]
	;; [unrolled: 1-line block ×3, first 2 shown]
	v_add_f64 v[219:220], v[237:238], -v[219:220]
	v_mul_f64 v[237:238], v[135:136], s[16:17]
	v_fma_f64 v[74:75], v[147:148], s[28:29], v[70:71]
	v_fma_f64 v[70:71], v[147:148], s[28:29], -v[70:71]
	v_mul_f64 v[147:148], v[151:152], s[4:5]
	v_mul_f64 v[34:35], v[114:115], s[18:19]
	v_fma_f64 v[82:83], v[249:250], s[40:41], v[80:81]
	v_fma_f64 v[80:81], v[249:250], s[46:47], v[80:81]
	v_mul_f64 v[38:39], v[114:115], s[8:9]
	v_add_f64 v[48:49], v[225:226], v[48:49]
	v_add_f64 v[26:27], v[68:69], v[26:27]
	v_add_f64 v[215:216], v[237:238], -v[215:216]
	v_mul_f64 v[237:238], v[110:111], s[26:27]
	v_add_f64 v[70:71], v[28:29], v[70:71]
	v_fma_f64 v[155:156], v[241:242], s[52:53], v[147:148]
	v_fma_f64 v[147:148], v[241:242], s[6:7], v[147:148]
	s_clause 0x3
	buffer_load_dword v241, off, s[60:63], 0 offset:384
	buffer_load_dword v242, off, s[60:63], 0 offset:388
	;; [unrolled: 1-line block ×4, first 2 shown]
	v_add_f64 v[74:75], v[28:29], v[74:75]
	v_fma_f64 v[36:37], v[253:254], s[30:31], v[34:35]
	v_add_f64 v[42:43], v[82:83], v[42:43]
	v_mul_f64 v[82:83], v[171:172], s[46:47]
	v_fma_f64 v[34:35], v[253:254], s[20:21], v[34:35]
	v_add_f64 v[40:41], v[80:81], v[40:41]
	v_add_f64 v[28:29], v[28:29], v[78:79]
	v_fma_f64 v[78:79], v[253:254], s[34:35], v[38:39]
	v_fma_f64 v[38:39], v[253:254], s[48:49], v[38:39]
	v_add_f64 v[48:49], v[231:232], v[48:49]
	v_add_f64 v[207:208], v[237:238], -v[207:208]
	v_mul_f64 v[237:238], v[94:95], s[4:5]
	v_add_f64 v[70:71], v[209:210], v[70:71]
	v_fma_f64 v[209:210], v[92:93], s[22:23], v[100:101]
	v_fma_f64 v[100:101], v[92:93], s[22:23], -v[100:101]
	v_add_f64 v[44:45], v[147:148], v[44:45]
	v_add_f64 v[46:47], v[155:156], v[46:47]
	;; [unrolled: 1-line block ×3, first 2 shown]
	v_fma_f64 v[80:81], v[123:124], s[22:23], -v[82:83]
	v_mul_f64 v[42:43], v[173:174], s[20:21]
	v_add_f64 v[34:35], v[34:35], v[40:41]
	v_add_f64 v[203:204], v[237:238], -v[203:204]
	v_mul_f64 v[237:238], v[92:93], s[18:19]
	v_add_f64 v[76:77], v[209:210], v[76:77]
	v_add_f64 v[72:73], v[100:101], v[72:73]
	;; [unrolled: 1-line block ×4, first 2 shown]
	v_fma_f64 v[40:41], v[106:107], s[18:19], -v[42:43]
	v_add_f64 v[201:202], v[237:238], -v[201:202]
	v_mul_f64 v[237:238], v[139:140], s[16:17]
	v_add_f64 v[38:39], v[38:39], v[44:45]
	v_add_f64 v[44:45], v[233:234], v[48:49]
	v_mul_f64 v[48:49], v[92:93], s[8:9]
	v_add_f64 v[78:79], v[78:79], v[46:47]
	v_add_f64 v[50:51], v[201:202], v[50:51]
	;; [unrolled: 1-line block ×3, first 2 shown]
	v_mul_f64 v[237:238], v[127:128], s[8:9]
	v_add_f64 v[50:51], v[203:204], v[50:51]
	v_add_f64 v[185:186], v[185:186], v[237:238]
	v_mul_f64 v[237:238], v[157:158], s[26:27]
	v_add_f64 v[50:51], v[207:208], v[50:51]
	v_add_f64 v[181:182], v[181:182], v[237:238]
	;; [unrolled: 3-line block ×3, first 2 shown]
	v_add_f64 v[187:188], v[187:188], v[237:238]
	v_mul_f64 v[237:238], v[151:152], s[28:29]
	v_add_f64 v[50:51], v[219:220], v[50:51]
	v_add_f64 v[52:53], v[185:186], v[52:53]
	;; [unrolled: 1-line block ×3, first 2 shown]
	v_mul_f64 v[237:238], v[92:93], s[26:27]
	v_add_f64 v[52:53], v[187:188], v[52:53]
	v_add_f64 v[175:176], v[237:238], -v[175:176]
	v_mul_f64 v[237:238], v[94:95], s[8:9]
	v_add_f64 v[52:53], v[191:192], v[52:53]
	v_add_f64 v[54:55], v[175:176], v[54:55]
	v_add_f64 v[177:178], v[237:238], -v[177:178]
	v_mul_f64 v[237:238], v[110:111], s[22:23]
	v_add_f64 v[52:53], v[197:198], v[52:53]
	;; [unrolled: 4-line block ×3, first 2 shown]
	v_add_f64 v[183:184], v[237:238], -v[183:184]
	v_mul_f64 v[237:238], v[157:158], s[28:29]
	v_add_f64 v[54:55], v[183:184], v[54:55]
	v_add_f64 v[141:142], v[141:142], v[237:238]
	v_mul_f64 v[237:238], v[127:128], s[18:19]
	v_add_f64 v[56:57], v[141:142], v[56:57]
	v_add_f64 v[143:144], v[143:144], v[237:238]
	;; [unrolled: 3-line block ×4, first 2 shown]
	v_mul_f64 v[237:238], v[135:136], s[22:23]
	v_add_f64 v[56:57], v[159:160], v[56:57]
	v_add_f64 v[149:150], v[237:238], -v[149:150]
	v_mul_f64 v[237:238], v[92:93], s[28:29]
	v_add_f64 v[131:132], v[237:238], -v[131:132]
	v_mul_f64 v[237:238], v[94:95], s[18:19]
	v_add_f64 v[58:59], v[131:132], v[58:59]
	v_add_f64 v[133:134], v[237:238], -v[133:134]
	v_mul_f64 v[237:238], v[110:111], s[4:5]
	v_add_f64 v[58:59], v[133:134], v[58:59]
	;; [unrolled: 3-line block ×3, first 2 shown]
	v_add_f64 v[108:109], v[108:109], v[237:238]
	v_mul_f64 v[237:238], v[151:152], s[8:9]
	v_add_f64 v[58:59], v[149:150], v[58:59]
	v_add_f64 v[60:61], v[108:109], v[60:61]
	;; [unrolled: 1-line block ×3, first 2 shown]
	v_mul_f64 v[237:238], v[127:128], s[28:29]
	v_add_f64 v[116:117], v[116:117], v[237:238]
	v_mul_f64 v[237:238], v[92:93], s[24:25]
	v_add_f64 v[60:61], v[116:117], v[60:61]
	v_add_f64 v[96:97], v[237:238], -v[96:97]
	v_mul_f64 v[237:238], v[129:130], s[18:19]
	v_add_f64 v[62:63], v[96:97], v[62:63]
	v_add_f64 v[118:119], v[118:119], v[237:238]
	v_mul_f64 v[237:238], v[157:158], s[16:17]
	v_mul_f64 v[157:158], v[157:158], s[8:9]
	;; [unrolled: 1-line block ×3, first 2 shown]
	v_add_f64 v[60:61], v[118:119], v[60:61]
	s_waitcnt vmcnt(2)
	v_add_f64 v[237:238], v[241:242], v[237:238]
	v_mul_f64 v[241:242], v[92:93], s[16:17]
	v_fma_f64 v[100:101], v[94:95], s[26:27], v[96:97]
	v_fma_f64 v[96:97], v[94:95], s[26:27], -v[96:97]
	v_add_f64 v[118:119], v[223:224], v[50:51]
	v_add_f64 v[60:61], v[125:126], v[60:61]
	;; [unrolled: 1-line block ×3, first 2 shown]
	s_waitcnt vmcnt(0)
	v_add_f64 v[241:242], v[241:242], -v[243:244]
	s_clause 0x1
	buffer_load_dword v243, off, s[60:63], 0 offset:120
	buffer_load_dword v244, off, s[60:63], 0 offset:124
	v_add_f64 v[70:71], v[96:97], v[70:71]
	v_mul_f64 v[96:97], v[145:146], s[10:11]
	v_add_f64 v[66:67], v[241:242], v[66:67]
	s_waitcnt vmcnt(0)
	v_add_f64 v[157:158], v[243:244], v[157:158]
	v_mul_f64 v[243:244], v[94:95], s[28:29]
	v_add_f64 v[30:31], v[157:158], v[30:31]
	v_add_f64 v[98:99], v[243:244], -v[98:99]
	v_fma_f64 v[243:244], v[92:93], s[4:5], v[229:230]
	v_add_f64 v[74:75], v[243:244], v[74:75]
	v_add_f64 v[74:75], v[100:101], v[74:75]
	v_fma_f64 v[100:101], v[94:95], s[16:17], v[96:97]
	v_fma_f64 v[96:97], v[94:95], s[16:17], -v[96:97]
	v_add_f64 v[76:77], v[100:101], v[76:77]
	v_add_f64 v[72:73], v[96:97], v[72:73]
	v_mul_f64 v[96:97], v[161:162], s[48:49]
	v_fma_f64 v[100:101], v[110:111], s[8:9], v[96:97]
	v_fma_f64 v[96:97], v[110:111], s[8:9], -v[96:97]
	v_add_f64 v[74:75], v[100:101], v[74:75]
	v_add_f64 v[70:71], v[96:97], v[70:71]
	v_mul_f64 v[96:97], v[161:162], s[54:55]
	v_add_f64 v[70:71], v[88:89], v[70:71]
	v_fma_f64 v[100:101], v[110:111], s[24:25], v[96:97]
	v_fma_f64 v[96:97], v[110:111], s[24:25], -v[96:97]
	v_mul_f64 v[88:89], v[169:170], s[6:7]
	v_add_f64 v[70:71], v[80:81], v[70:71]
	v_mul_f64 v[80:81], v[171:172], s[38:39]
	v_add_f64 v[72:73], v[96:97], v[72:73]
	v_fma_f64 v[96:97], v[135:136], s[24:25], v[90:91]
	v_fma_f64 v[90:91], v[135:136], s[4:5], v[88:89]
	v_fma_f64 v[88:89], v[135:136], s[4:5], -v[88:89]
	v_add_f64 v[76:77], v[100:101], v[76:77]
	v_add_f64 v[70:71], v[40:41], v[70:71]
	v_mul_f64 v[40:41], v[173:174], s[48:49]
	v_add_f64 v[74:75], v[96:97], v[74:75]
	v_add_f64 v[72:73], v[88:89], v[72:73]
	v_fma_f64 v[88:89], v[123:124], s[22:23], v[82:83]
	v_fma_f64 v[82:83], v[123:124], s[28:29], v[80:81]
	v_fma_f64 v[80:81], v[123:124], s[28:29], -v[80:81]
	v_add_f64 v[76:77], v[90:91], v[76:77]
	v_add_f64 v[74:75], v[88:89], v[74:75]
	;; [unrolled: 1-line block ×3, first 2 shown]
	v_fma_f64 v[80:81], v[106:107], s[18:19], v[42:43]
	v_fma_f64 v[42:43], v[106:107], s[8:9], -v[40:41]
	v_add_f64 v[76:77], v[82:83], v[76:77]
	v_fma_f64 v[40:41], v[106:107], s[8:9], v[40:41]
	v_add_f64 v[74:75], v[80:81], v[74:75]
	v_add_f64 v[42:43], v[42:43], v[72:73]
	s_clause 0xb
	buffer_load_dword v72, off, s[60:63], 0 offset:24
	buffer_load_dword v73, off, s[60:63], 0 offset:28
	;; [unrolled: 1-line block ×12, first 2 shown]
	v_add_f64 v[76:77], v[40:41], v[76:77]
	v_add_f64 v[40:41], v[227:228], v[118:119]
	s_waitcnt vmcnt(10)
	v_add_f64 v[48:49], v[48:49], -v[72:73]
	v_mul_f64 v[72:73], v[127:128], s[24:25]
	v_add_f64 v[28:29], v[48:49], v[28:29]
	s_waitcnt vmcnt(8)
	v_add_f64 v[72:73], v[80:81], v[72:73]
	v_mul_f64 v[80:81], v[94:95], s[24:25]
	v_add_f64 v[48:49], v[98:99], v[62:63]
	v_mul_f64 v[62:63], v[129:130], s[28:29]
	v_add_f64 v[64:65], v[72:73], v[64:65]
	s_waitcnt vmcnt(6)
	v_add_f64 v[80:81], v[80:81], -v[82:83]
	v_mul_f64 v[82:83], v[127:128], s[22:23]
	v_mul_f64 v[72:73], v[110:111], s[28:29]
	v_add_f64 v[66:67], v[80:81], v[66:67]
	s_waitcnt vmcnt(4)
	v_add_f64 v[82:83], v[84:85], v[82:83]
	v_mul_f64 v[84:85], v[110:111], s[18:19]
	v_mul_f64 v[80:81], v[129:130], s[16:17]
	v_add_f64 v[30:31], v[82:83], v[30:31]
	s_waitcnt vmcnt(2)
	v_add_f64 v[84:85], v[84:85], -v[86:87]
	v_mul_f64 v[86:87], v[94:95], s[22:23]
	v_mul_f64 v[82:83], v[110:111], s[16:17]
	v_add_f64 v[48:49], v[84:85], v[48:49]
	s_waitcnt vmcnt(0)
	v_add_f64 v[86:87], v[86:87], -v[88:89]
	s_clause 0x1
	buffer_load_dword v88, off, s[60:63], 0 offset:224
	buffer_load_dword v89, off, s[60:63], 0 offset:228
	v_mul_f64 v[84:85], v[151:152], s[26:27]
	v_add_f64 v[28:29], v[86:87], v[28:29]
	v_mul_f64 v[86:87], v[135:136], s[8:9]
	s_waitcnt vmcnt(0)
	v_add_f64 v[62:63], v[88:89], v[62:63]
	s_clause 0x1
	buffer_load_dword v88, off, s[60:63], 0 offset:216
	buffer_load_dword v89, off, s[60:63], 0 offset:220
	v_add_f64 v[62:63], v[62:63], v[64:65]
	v_mul_f64 v[64:65], v[135:136], s[26:27]
	s_waitcnt vmcnt(0)
	v_add_f64 v[72:73], v[72:73], -v[88:89]
	s_clause 0x1
	buffer_load_dword v88, off, s[60:63], 0 offset:64
	buffer_load_dword v89, off, s[60:63], 0 offset:68
	v_add_f64 v[66:67], v[72:73], v[66:67]
	v_mul_f64 v[72:73], v[151:152], s[18:19]
	s_waitcnt vmcnt(0)
	v_add_f64 v[80:81], v[88:89], v[80:81]
	s_clause 0x1
	buffer_load_dword v88, off, s[60:63], 0 offset:48
	buffer_load_dword v89, off, s[60:63], 0 offset:52
	v_add_f64 v[30:31], v[80:81], v[30:31]
	v_mul_f64 v[80:81], v[135:136], s[18:19]
	s_waitcnt vmcnt(0)
	v_add_f64 v[82:83], v[82:83], -v[88:89]
	s_clause 0x1
	buffer_load_dword v88, off, s[60:63], 0 offset:296
	buffer_load_dword v89, off, s[60:63], 0 offset:300
	v_add_f64 v[28:29], v[82:83], v[28:29]
	v_mul_f64 v[82:83], v[123:124], s[16:17]
	v_add_f64 v[82:83], v[82:83], -v[251:252]
	v_add_f64 v[54:55], v[82:83], v[54:55]
	s_waitcnt vmcnt(0)
	v_add_f64 v[86:87], v[86:87], -v[88:89]
	s_clause 0x1
	buffer_load_dword v88, off, s[60:63], 0 offset:208
	buffer_load_dword v89, off, s[60:63], 0 offset:212
	v_add_f64 v[48:49], v[86:87], v[48:49]
	s_waitcnt vmcnt(0)
	v_add_f64 v[84:85], v[88:89], v[84:85]
	s_clause 0x1
	buffer_load_dword v88, off, s[60:63], 0 offset:184
	buffer_load_dword v89, off, s[60:63], 0 offset:188
	v_add_f64 v[62:63], v[84:85], v[62:63]
	v_mul_f64 v[84:85], v[123:124], s[18:19]
	s_waitcnt vmcnt(0)
	v_add_f64 v[64:65], v[64:65], -v[88:89]
	s_clause 0x1
	buffer_load_dword v88, off, s[60:63], 0 offset:112
	buffer_load_dword v89, off, s[60:63], 0 offset:116
	v_add_f64 v[64:65], v[64:65], v[66:67]
	v_mul_f64 v[66:67], v[114:115], s[4:5]
	s_waitcnt vmcnt(0)
	v_add_f64 v[72:73], v[88:89], v[72:73]
	s_clause 0xb
	buffer_load_dword v88, off, s[60:63], 0 offset:80
	buffer_load_dword v89, off, s[60:63], 0 offset:84
	;; [unrolled: 1-line block ×12, first 2 shown]
	v_add_f64 v[30:31], v[72:73], v[30:31]
	v_mul_f64 v[72:73], v[123:124], s[24:25]
	s_waitcnt vmcnt(10)
	v_add_f64 v[80:81], v[80:81], -v[88:89]
	v_mul_f64 v[88:89], v[139:140], s[26:27]
	v_add_f64 v[28:29], v[80:81], v[28:29]
	s_waitcnt vmcnt(8)
	v_add_f64 v[88:89], v[90:91], v[88:89]
	v_mul_f64 v[90:91], v[123:124], s[26:27]
	v_add_f64 v[56:57], v[88:89], v[56:57]
	s_waitcnt vmcnt(6)
	v_add_f64 v[90:91], v[90:91], -v[92:93]
	v_mul_f64 v[92:93], v[139:140], s[4:5]
	v_mul_f64 v[88:89], v[106:107], s[24:25]
	v_add_f64 v[58:59], v[90:91], v[58:59]
	s_waitcnt vmcnt(4)
	v_add_f64 v[92:93], v[94:95], v[92:93]
	v_mul_f64 v[94:95], v[123:124], s[4:5]
	v_add_f64 v[60:61], v[92:93], v[60:61]
	s_waitcnt vmcnt(2)
	v_add_f64 v[94:95], v[94:95], -v[96:97]
	v_mul_f64 v[96:97], v[139:140], s[18:19]
	v_mul_f64 v[92:93], v[106:107], s[16:17]
	v_add_f64 v[48:49], v[94:95], v[48:49]
	s_waitcnt vmcnt(0)
	v_add_f64 v[96:97], v[98:99], v[96:97]
	s_clause 0x3
	buffer_load_dword v98, off, s[60:63], 0 offset:160
	buffer_load_dword v99, off, s[60:63], 0 offset:164
	;; [unrolled: 1-line block ×4, first 2 shown]
	v_add_f64 v[62:63], v[96:97], v[62:63]
	v_mul_f64 v[96:97], v[106:107], s[22:23]
	s_waitcnt vmcnt(2)
	v_add_f64 v[84:85], v[84:85], -v[98:99]
	v_mul_f64 v[98:99], v[139:140], s[24:25]
	v_add_f64 v[64:65], v[84:85], v[64:65]
	s_waitcnt vmcnt(0)
	v_add_f64 v[98:99], v[100:101], v[98:99]
	s_clause 0x5
	buffer_load_dword v100, off, s[60:63], 0 offset:56
	buffer_load_dword v101, off, s[60:63], 0 offset:60
	;; [unrolled: 1-line block ×6, first 2 shown]
	v_add_f64 v[30:31], v[98:99], v[30:31]
	v_mul_f64 v[98:99], v[106:107], s[26:27]
	s_waitcnt vmcnt(4)
	v_add_f64 v[72:73], v[72:73], -v[100:101]
	s_clause 0x1
	buffer_load_dword v100, off, s[60:63], 0 offset:328
	buffer_load_dword v101, off, s[60:63], 0 offset:332
	s_waitcnt vmcnt(4)
	v_add_f64 v[66:67], v[80:81], v[66:67]
	v_mul_f64 v[80:81], v[106:107], s[4:5]
	v_add_f64 v[28:29], v[72:73], v[28:29]
	v_mul_f64 v[72:73], v[121:122], s[24:25]
	v_add_f64 v[52:53], v[66:67], v[52:53]
	s_waitcnt vmcnt(2)
	v_add_f64 v[80:81], v[80:81], -v[86:87]
	v_mul_f64 v[86:87], v[114:115], s[24:25]
	v_mul_f64 v[66:67], v[102:103], s[24:25]
	v_add_f64 v[80:81], v[80:81], v[54:55]
	s_waitcnt vmcnt(0)
	v_add_f64 v[86:87], v[100:101], v[86:87]
	s_clause 0x3
	buffer_load_dword v100, off, s[60:63], 0 offset:312
	buffer_load_dword v101, off, s[60:63], 0 offset:316
	;; [unrolled: 1-line block ×4, first 2 shown]
	v_add_f64 v[56:57], v[86:87], v[56:57]
	s_waitcnt vmcnt(2)
	v_add_f64 v[88:89], v[88:89], -v[100:101]
	v_mul_f64 v[100:101], v[114:115], s[16:17]
	v_add_f64 v[88:89], v[88:89], v[58:59]
	s_waitcnt vmcnt(0)
	v_add_f64 v[100:101], v[108:109], v[100:101]
	s_clause 0x3
	buffer_load_dword v108, off, s[60:63], 0 offset:240
	buffer_load_dword v109, off, s[60:63], 0 offset:244
	;; [unrolled: 1-line block ×4, first 2 shown]
	v_add_f64 v[60:61], v[100:101], v[60:61]
	s_waitcnt vmcnt(2)
	v_add_f64 v[92:93], v[92:93], -v[108:109]
	v_mul_f64 v[108:109], v[114:115], s[22:23]
	v_add_f64 v[48:49], v[92:93], v[48:49]
	s_waitcnt vmcnt(0)
	v_add_f64 v[108:109], v[110:111], v[108:109]
	s_clause 0x1
	buffer_load_dword v110, off, s[60:63], 0 offset:144
	buffer_load_dword v111, off, s[60:63], 0 offset:148
	v_add_f64 v[62:63], v[108:109], v[62:63]
	s_waitcnt vmcnt(0)
	v_add_f64 v[96:97], v[96:97], -v[110:111]
	v_mul_f64 v[110:111], v[114:115], s[26:27]
	s_clause 0x5
	buffer_load_dword v114, off, s[60:63], 0 offset:40
	buffer_load_dword v115, off, s[60:63], 0 offset:44
	;; [unrolled: 1-line block ×6, first 2 shown]
	v_add_f64 v[64:65], v[96:97], v[64:65]
	s_waitcnt vmcnt(4)
	v_add_f64 v[110:111], v[114:115], v[110:111]
	s_waitcnt vmcnt(2)
	v_add_f64 v[98:99], v[98:99], -v[106:107]
	s_waitcnt vmcnt(0)
	v_add_f64 v[72:73], v[82:83], v[72:73]
	s_clause 0xf
	buffer_load_dword v82, off, s[60:63], 0 offset:352
	buffer_load_dword v83, off, s[60:63], 0 offset:356
	;; [unrolled: 1-line block ×16, first 2 shown]
	v_mul_f64 v[114:115], v[121:122], s[18:19]
	v_add_f64 v[98:99], v[98:99], v[28:29]
	v_mul_f64 v[28:29], v[112:113], s[44:45]
	v_mul_f64 v[112:113], v[112:113], s[20:21]
	v_add_f64 v[46:47], v[72:73], v[52:53]
	v_fma_f64 v[96:97], v[104:105], s[20:21], v[114:115]
	v_fma_f64 v[54:55], v[102:103], s[16:17], v[28:29]
	v_fma_f64 v[116:117], v[102:103], s[18:19], -v[112:113]
	v_add_f64 v[38:39], v[96:97], v[38:39]
	s_waitcnt vmcnt(14)
	v_add_f64 v[66:67], v[66:67], -v[82:83]
	v_mul_f64 v[82:83], v[121:122], s[8:9]
	s_waitcnt vmcnt(12)
	v_add_f64 v[82:83], v[84:85], v[82:83]
	v_mul_f64 v[84:85], v[102:103], s[8:9]
	v_add_f64 v[50:51], v[82:83], v[56:57]
	s_waitcnt vmcnt(10)
	v_add_f64 v[84:85], v[84:85], -v[86:87]
	v_mul_f64 v[86:87], v[121:122], s[26:27]
	s_waitcnt vmcnt(8)
	v_add_f64 v[86:87], v[90:91], v[86:87]
	v_mul_f64 v[90:91], v[102:103], s[26:27]
	s_waitcnt vmcnt(6)
	v_add_f64 v[90:91], v[90:91], -v[94:95]
	v_mul_f64 v[94:95], v[121:122], s[4:5]
	v_add_f64 v[52:53], v[90:91], v[48:49]
	s_waitcnt vmcnt(4)
	v_add_f64 v[94:95], v[100:101], v[94:95]
	v_mul_f64 v[100:101], v[102:103], s[4:5]
	v_add_f64 v[48:49], v[84:85], v[88:89]
	s_waitcnt vmcnt(2)
	v_add_f64 v[100:101], v[100:101], -v[106:107]
	v_mul_f64 v[106:107], v[121:122], s[28:29]
	v_add_f64 v[56:57], v[100:101], v[64:65]
	s_waitcnt vmcnt(0)
	v_add_f64 v[106:107], v[108:109], v[106:107]
	v_add_f64 v[108:109], v[110:111], v[30:31]
	s_clause 0x3
	buffer_load_dword v110, off, s[60:63], 0 offset:72
	buffer_load_dword v111, off, s[60:63], 0 offset:76
	buffer_load_dword v32, off, s[60:63], 0
	buffer_load_dword v69, off, s[60:63], 0 offset:4
	v_mul_f64 v[30:31], v[102:103], s[28:29]
	s_waitcnt vmcnt(2)
	v_add_f64 v[110:111], v[30:31], -v[110:111]
	v_mul_f64 v[30:31], v[121:122], s[16:17]
	s_waitcnt vmcnt(1)
	v_mul_lo_u16 v68, v32, 17
	v_and_b32_e32 v68, 0xffff, v68
	s_waitcnt vmcnt(0)
	v_add_lshl_u32 v68, v69, v68, 4
	v_fma_f64 v[58:59], v[104:105], s[10:11], v[30:31]
	v_fma_f64 v[92:93], v[104:105], s[44:45], v[30:31]
	;; [unrolled: 1-line block ×3, first 2 shown]
	v_fma_f64 v[114:115], v[102:103], s[16:17], -v[28:29]
	v_fma_f64 v[102:103], v[102:103], s[18:19], v[112:113]
	v_add_f64 v[28:29], v[54:55], v[74:75]
	v_add_f64 v[54:55], v[86:87], v[60:61]
	;; [unrolled: 1-line block ×13, first 2 shown]
	ds_write_b128 v68, v[24:27]
	ds_write_b128 v68, v[60:63] offset:16
	ds_write_b128 v68, v[56:59] offset:32
	;; [unrolled: 1-line block ×16, first 2 shown]
.LBB0_7:
	s_or_b32 exec_lo, exec_lo, s33
	buffer_load_dword v153, off, s[60:63], 0 ; 4-byte Folded Reload
	s_load_dwordx4 s[4:7], s[2:3], 0x0
	s_waitcnt vmcnt(0) lgkmcnt(0)
	s_barrier
	buffer_gl0_inv
	s_mov_b32 s22, 0xf8bb580b
	s_mov_b32 s16, 0x43842ef
	;; [unrolled: 1-line block ×24, first 2 shown]
	v_mul_u32_u24_e32 v24, 10, v153
	v_lshlrev_b32_e32 v28, 4, v24
	s_clause 0x9
	global_load_dwordx4 v[24:27], v28, s[0:1]
	global_load_dwordx4 v[44:47], v28, s[0:1] offset:144
	global_load_dwordx4 v[60:63], v28, s[0:1] offset:16
	global_load_dwordx4 v[56:59], v28, s[0:1] offset:128
	global_load_dwordx4 v[52:55], v28, s[0:1] offset:32
	global_load_dwordx4 v[48:51], v28, s[0:1] offset:112
	global_load_dwordx4 v[40:43], v28, s[0:1] offset:48
	global_load_dwordx4 v[36:39], v28, s[0:1] offset:96
	global_load_dwordx4 v[32:35], v28, s[0:1] offset:64
	global_load_dwordx4 v[28:31], v28, s[0:1] offset:80
	buffer_load_dword v64, off, s[60:63], 0 offset:4 ; 4-byte Folded Reload
	s_mov_b32 s0, 0xd9c712b6
	s_mov_b32 s1, 0x3fda9628
	s_waitcnt vmcnt(0)
	v_add_lshl_u32 v154, v64, v153, 4
	ds_read_b128 v[64:67], v154 offset:272
	ds_read_b128 v[68:71], v154 offset:2720
	ds_read_b128 v[72:75], v154
	ds_read_b128 v[76:79], v154 offset:544
	ds_read_b128 v[80:83], v154 offset:816
	;; [unrolled: 1-line block ×3, first 2 shown]
	s_waitcnt lgkmcnt(5)
	v_mul_f64 v[88:89], v[64:65], v[26:27]
	s_waitcnt lgkmcnt(4)
	v_mul_f64 v[90:91], v[68:69], v[46:47]
	v_mul_f64 v[92:93], v[66:67], v[26:27]
	;; [unrolled: 1-line block ×3, first 2 shown]
	s_waitcnt lgkmcnt(2)
	v_mul_f64 v[108:109], v[78:79], v[62:63]
	v_mul_f64 v[110:111], v[76:77], v[62:63]
	s_waitcnt lgkmcnt(0)
	v_mul_f64 v[112:113], v[86:87], v[58:59]
	v_mul_f64 v[114:115], v[84:85], v[58:59]
	;; [unrolled: 1-line block ×4, first 2 shown]
	v_fma_f64 v[104:105], v[66:67], v[24:25], v[88:89]
	v_fma_f64 v[66:67], v[70:71], v[44:45], v[90:91]
	v_fma_f64 v[106:107], v[64:65], v[24:25], -v[92:93]
	v_fma_f64 v[64:65], v[68:69], v[44:45], -v[94:95]
	ds_read_b128 v[88:91], v154 offset:2176
	ds_read_b128 v[68:71], v154 offset:1088
	;; [unrolled: 1-line block ×5, first 2 shown]
	v_fma_f64 v[76:77], v[76:77], v[60:61], -v[108:109]
	v_fma_f64 v[78:79], v[78:79], v[60:61], v[110:111]
	v_fma_f64 v[84:85], v[84:85], v[56:57], -v[112:113]
	v_fma_f64 v[86:87], v[86:87], v[56:57], v[114:115]
	;; [unrolled: 2-line block ×3, first 2 shown]
	v_add_f64 v[121:122], v[104:105], -v[66:67]
	s_waitcnt lgkmcnt(4)
	v_mul_f64 v[123:124], v[90:91], v[50:51]
	v_mul_f64 v[125:126], v[88:89], v[50:51]
	s_waitcnt lgkmcnt(3)
	v_mul_f64 v[127:128], v[70:71], v[42:43]
	v_add_f64 v[129:130], v[106:107], -v[64:65]
	v_mul_f64 v[131:132], v[68:69], v[42:43]
	s_waitcnt lgkmcnt(2)
	v_mul_f64 v[133:134], v[94:95], v[38:39]
	v_mul_f64 v[135:136], v[92:93], v[38:39]
	s_waitcnt lgkmcnt(1)
	v_mul_f64 v[137:138], v[98:99], v[34:35]
	;; [unrolled: 3-line block ×3, first 2 shown]
	v_mul_f64 v[143:144], v[100:101], v[30:31]
	v_add_f64 v[108:109], v[106:107], v[64:65]
	v_add_f64 v[118:119], v[104:105], v[66:67]
	v_add_f64 v[155:156], v[78:79], -v[86:87]
	v_add_f64 v[157:158], v[76:77], v[84:85]
	v_add_f64 v[159:160], v[78:79], v[86:87]
	;; [unrolled: 1-line block ×4, first 2 shown]
	v_mul_f64 v[110:111], v[121:122], s[22:23]
	v_mul_f64 v[112:113], v[121:122], s[8:9]
	v_fma_f64 v[88:89], v[88:89], v[48:49], -v[123:124]
	v_mul_f64 v[114:115], v[121:122], s[16:17]
	v_fma_f64 v[90:91], v[90:91], v[48:49], v[125:126]
	v_mul_f64 v[116:117], v[121:122], s[20:21]
	v_mul_f64 v[123:124], v[129:130], s[22:23]
	;; [unrolled: 1-line block ×3, first 2 shown]
	v_fma_f64 v[125:126], v[68:69], v[40:41], -v[127:128]
	v_mul_f64 v[68:69], v[129:130], s[8:9]
	v_fma_f64 v[127:128], v[70:71], v[40:41], v[131:132]
	v_fma_f64 v[92:93], v[92:93], v[36:37], -v[133:134]
	v_fma_f64 v[94:95], v[94:95], v[36:37], v[135:136]
	v_fma_f64 v[96:97], v[96:97], v[32:33], -v[137:138]
	v_mul_f64 v[70:71], v[129:130], s[16:17]
	v_fma_f64 v[98:99], v[98:99], v[32:33], v[139:140]
	v_fma_f64 v[100:101], v[100:101], v[28:29], -v[141:142]
	v_fma_f64 v[102:103], v[102:103], v[28:29], v[143:144]
	v_mul_f64 v[131:132], v[129:130], s[20:21]
	v_mul_f64 v[129:130], v[129:130], s[26:27]
	v_add_f64 v[78:79], v[104:105], v[78:79]
	v_mul_f64 v[104:105], v[155:156], s[34:35]
	v_fma_f64 v[133:134], v[108:109], s[2:3], -v[110:111]
	v_fma_f64 v[110:111], v[108:109], s[2:3], v[110:111]
	v_fma_f64 v[135:136], v[108:109], s[0:1], -v[112:113]
	v_fma_f64 v[112:113], v[108:109], s[0:1], v[112:113]
	;; [unrolled: 2-line block ×4, first 2 shown]
	v_fma_f64 v[141:142], v[118:119], s[2:3], v[123:124]
	v_fma_f64 v[143:144], v[108:109], s[24:25], -v[121:122]
	v_fma_f64 v[108:109], v[108:109], s[24:25], v[121:122]
	v_fma_f64 v[121:122], v[118:119], s[0:1], v[68:69]
	v_fma_f64 v[68:69], v[118:119], s[0:1], -v[68:69]
	v_fma_f64 v[123:124], v[118:119], s[2:3], -v[123:124]
	v_fma_f64 v[145:146], v[118:119], s[10:11], v[70:71]
	v_fma_f64 v[70:71], v[118:119], s[10:11], -v[70:71]
	v_add_f64 v[163:164], v[80:81], v[88:89]
	v_add_f64 v[167:168], v[80:81], -v[88:89]
	v_fma_f64 v[147:148], v[118:119], s[18:19], v[131:132]
	v_fma_f64 v[131:132], v[118:119], s[18:19], -v[131:132]
	v_fma_f64 v[149:150], v[118:119], s[24:25], v[129:130]
	v_fma_f64 v[118:119], v[118:119], s[24:25], -v[129:130]
	v_add_f64 v[129:130], v[72:73], v[133:134]
	v_add_f64 v[110:111], v[72:73], v[110:111]
	;; [unrolled: 1-line block ×13, first 2 shown]
	v_mul_f64 v[68:69], v[155:156], s[8:9]
	v_add_f64 v[123:124], v[74:75], v[123:124]
	v_add_f64 v[151:152], v[74:75], v[70:71]
	;; [unrolled: 1-line block ×8, first 2 shown]
	v_mul_f64 v[171:172], v[167:168], s[16:17]
	v_add_f64 v[173:174], v[127:128], -v[94:95]
	v_add_f64 v[175:176], v[125:126], v[92:93]
	v_add_f64 v[179:180], v[125:126], -v[92:93]
	v_add_f64 v[181:182], v[127:128], v[94:95]
	;; [unrolled: 2-line block ×4, first 2 shown]
	v_add_f64 v[78:79], v[78:79], v[82:83]
	v_fma_f64 v[70:71], v[157:158], s[0:1], -v[68:69]
	v_fma_f64 v[68:69], v[157:158], s[0:1], v[68:69]
	v_mul_f64 v[177:178], v[173:174], s[20:21]
	v_mul_f64 v[183:184], v[179:180], s[20:21]
	;; [unrolled: 1-line block ×3, first 2 shown]
	v_add_f64 v[78:79], v[78:79], v[127:128]
	v_mul_f64 v[127:128], v[167:168], s[22:23]
	v_add_f64 v[70:71], v[70:71], v[129:130]
	v_add_f64 v[129:130], v[76:77], -v[84:85]
	v_add_f64 v[68:69], v[68:69], v[110:111]
	v_add_f64 v[76:77], v[106:107], v[76:77]
	v_mul_f64 v[106:107], v[155:156], s[28:29]
	v_add_f64 v[78:79], v[78:79], v[98:99]
	v_fma_f64 v[211:212], v[169:170], s[2:3], v[127:128]
	v_fma_f64 v[127:128], v[169:170], s[2:3], -v[127:128]
	v_mul_f64 v[98:99], v[173:174], s[22:23]
	v_mul_f64 v[161:162], v[129:130], s[8:9]
	s_mov_b32 s9, 0x3fed1bb4
	v_add_f64 v[76:77], v[76:77], v[80:81]
	v_mul_f64 v[80:81], v[155:156], s[20:21]
	v_add_f64 v[78:79], v[78:79], v[102:103]
	v_mul_f64 v[102:103], v[179:180], s[22:23]
	v_fma_f64 v[219:220], v[175:176], s[2:3], -v[98:99]
	v_fma_f64 v[98:99], v[175:176], s[2:3], v[98:99]
	v_fma_f64 v[72:73], v[159:160], s[0:1], v[161:162]
	v_fma_f64 v[110:111], v[159:160], s[0:1], -v[161:162]
	v_fma_f64 v[161:162], v[157:158], s[2:3], -v[106:107]
	v_fma_f64 v[106:107], v[157:158], s[2:3], v[106:107]
	v_add_f64 v[76:77], v[76:77], v[125:126]
	v_mul_f64 v[125:126], v[167:168], s[30:31]
	v_add_f64 v[78:79], v[78:79], v[94:95]
	v_mul_f64 v[94:95], v[185:186], s[20:21]
	v_fma_f64 v[227:228], v[181:182], s[2:3], v[102:103]
	v_fma_f64 v[102:103], v[181:182], s[2:3], -v[102:103]
	v_add_f64 v[72:73], v[72:73], v[133:134]
	v_add_f64 v[133:134], v[82:83], -v[90:91]
	v_add_f64 v[110:111], v[110:111], v[123:124]
	v_mul_f64 v[82:83], v[155:156], s[30:31]
	v_fma_f64 v[155:156], v[157:158], s[10:11], -v[104:105]
	v_fma_f64 v[104:105], v[157:158], s[10:11], v[104:105]
	v_add_f64 v[76:77], v[76:77], v[96:97]
	v_fma_f64 v[209:210], v[169:170], s[24:25], v[125:126]
	v_fma_f64 v[125:126], v[169:170], s[24:25], -v[125:126]
	v_mul_f64 v[96:97], v[173:174], s[34:35]
	v_add_f64 v[106:107], v[106:107], v[108:109]
	v_add_f64 v[78:79], v[78:79], v[90:91]
	v_mul_f64 v[90:91], v[191:192], s[20:21]
	v_mul_f64 v[165:166], v[133:134], s[16:17]
	;; [unrolled: 1-line block ×4, first 2 shown]
	v_add_f64 v[104:105], v[104:105], v[116:117]
	v_add_f64 v[76:77], v[76:77], v[100:101]
	v_mul_f64 v[100:101], v[179:180], s[34:35]
	v_add_f64 v[116:117], v[161:162], v[143:144]
	v_fma_f64 v[217:218], v[175:176], s[10:11], -v[96:97]
	v_fma_f64 v[96:97], v[175:176], s[10:11], v[96:97]
	v_add_f64 v[161:162], v[78:79], v[86:87]
	v_fma_f64 v[74:75], v[163:164], s[10:11], -v[165:166]
	v_fma_f64 v[123:124], v[163:164], s[10:11], v[165:166]
	v_mul_f64 v[165:166], v[129:130], s[30:31]
	v_fma_f64 v[203:204], v[163:164], s[2:3], -v[197:198]
	v_fma_f64 v[197:198], v[163:164], s[2:3], v[197:198]
	v_fma_f64 v[205:206], v[163:164], s[18:19], -v[199:200]
	v_fma_f64 v[199:200], v[163:164], s[18:19], v[199:200]
	v_add_f64 v[76:77], v[76:77], v[92:93]
	v_mul_f64 v[92:93], v[185:186], s[28:29]
	v_fma_f64 v[225:226], v[181:182], s[10:11], v[100:101]
	v_fma_f64 v[100:101], v[181:182], s[10:11], -v[100:101]
	v_add_f64 v[66:67], v[161:162], v[66:67]
	v_add_f64 v[70:71], v[74:75], v[70:71]
	v_fma_f64 v[74:75], v[169:170], s[10:11], v[171:172]
	v_add_f64 v[68:69], v[123:124], v[68:69]
	v_fma_f64 v[123:124], v[169:170], s[10:11], -v[171:172]
	v_mul_f64 v[171:172], v[129:130], s[34:35]
	v_add_f64 v[104:105], v[197:198], v[104:105]
	v_add_f64 v[116:117], v[205:206], v[116:117]
	;; [unrolled: 1-line block ×3, first 2 shown]
	v_mul_f64 v[88:89], v[191:192], s[28:29]
	v_fma_f64 v[143:144], v[187:188], s[2:3], -v[92:93]
	v_add_f64 v[106:107], v[199:200], v[106:107]
	v_add_f64 v[72:73], v[74:75], v[72:73]
	v_fma_f64 v[74:75], v[175:176], s[18:19], -v[177:178]
	v_add_f64 v[110:111], v[123:124], v[110:111]
	v_fma_f64 v[123:124], v[175:176], s[18:19], v[177:178]
	v_add_f64 v[70:71], v[74:75], v[70:71]
	v_fma_f64 v[74:75], v[181:182], s[18:19], v[183:184]
	v_add_f64 v[68:69], v[123:124], v[68:69]
	v_fma_f64 v[123:124], v[181:182], s[18:19], -v[183:184]
	v_fma_f64 v[183:184], v[159:160], s[24:25], v[165:166]
	v_fma_f64 v[165:166], v[159:160], s[24:25], -v[165:166]
	v_add_f64 v[74:75], v[74:75], v[72:73]
	v_fma_f64 v[72:73], v[187:188], s[24:25], -v[189:190]
	v_add_f64 v[110:111], v[123:124], v[110:111]
	v_fma_f64 v[123:124], v[187:188], s[24:25], v[189:190]
	v_fma_f64 v[189:190], v[159:160], s[10:11], v[171:172]
	v_fma_f64 v[171:172], v[159:160], s[10:11], -v[171:172]
	v_add_f64 v[72:73], v[72:73], v[70:71]
	v_mul_f64 v[70:71], v[191:192], s[26:27]
	v_add_f64 v[68:69], v[123:124], v[68:69]
	v_fma_f64 v[123:124], v[157:158], s[24:25], -v[82:83]
	v_fma_f64 v[82:83], v[157:158], s[24:25], v[82:83]
	v_fma_f64 v[195:196], v[193:194], s[24:25], v[70:71]
	v_fma_f64 v[70:71], v[193:194], s[24:25], -v[70:71]
	v_add_f64 v[123:124], v[123:124], v[137:138]
	v_add_f64 v[82:83], v[82:83], v[114:115]
	;; [unrolled: 1-line block ×3, first 2 shown]
	v_fma_f64 v[147:148], v[187:188], s[18:19], v[94:95]
	v_add_f64 v[74:75], v[195:196], v[74:75]
	v_add_f64 v[70:71], v[70:71], v[110:111]
	v_fma_f64 v[110:111], v[157:158], s[18:19], -v[80:81]
	v_fma_f64 v[80:81], v[157:158], s[18:19], v[80:81]
	v_mul_f64 v[157:158], v[129:130], s[20:21]
	v_mul_f64 v[129:130], v[129:130], s[28:29]
	v_add_f64 v[114:115], v[211:212], v[114:115]
	v_add_f64 v[110:111], v[110:111], v[135:136]
	;; [unrolled: 1-line block ×3, first 2 shown]
	v_fma_f64 v[177:178], v[159:160], s[18:19], v[157:158]
	v_fma_f64 v[157:158], v[159:160], s[18:19], -v[157:158]
	v_fma_f64 v[195:196], v[159:160], s[2:3], v[129:130]
	v_fma_f64 v[129:130], v[159:160], s[2:3], -v[129:130]
	v_mul_f64 v[159:160], v[133:134], s[30:31]
	v_mul_f64 v[133:134], v[133:134], s[8:9]
	v_add_f64 v[80:81], v[80:81], v[112:113]
	v_add_f64 v[112:113], v[155:156], v[139:140]
	v_fma_f64 v[145:146], v[187:188], s[2:3], v[92:93]
	v_fma_f64 v[92:93], v[187:188], s[18:19], -v[94:95]
	v_fma_f64 v[155:156], v[193:194], s[18:19], -v[90:91]
	v_mul_f64 v[139:140], v[185:186], s[16:17]
	v_add_f64 v[121:122], v[177:178], v[121:122]
	v_add_f64 v[137:138], v[195:196], v[149:150]
	;; [unrolled: 1-line block ×3, first 2 shown]
	v_fma_f64 v[201:202], v[163:164], s[24:25], -v[159:160]
	v_fma_f64 v[159:160], v[163:164], s[24:25], v[159:160]
	v_fma_f64 v[207:208], v[163:164], s[0:1], -v[133:134]
	v_fma_f64 v[133:134], v[163:164], s[0:1], v[133:134]
	v_mul_f64 v[163:164], v[167:168], s[20:21]
	v_mul_f64 v[167:168], v[167:168], s[8:9]
	v_add_f64 v[118:119], v[171:172], v[131:132]
	v_add_f64 v[129:130], v[165:166], v[151:152]
	;; [unrolled: 1-line block ×3, first 2 shown]
	v_mul_f64 v[141:142], v[185:186], s[8:9]
	v_add_f64 v[112:113], v[203:204], v[112:113]
	v_fma_f64 v[149:150], v[187:188], s[10:11], -v[139:140]
	v_fma_f64 v[139:140], v[187:188], s[10:11], v[139:140]
	v_add_f64 v[94:95], v[201:202], v[110:111]
	v_add_f64 v[110:111], v[209:210], v[121:122]
	;; [unrolled: 1-line block ×4, first 2 shown]
	v_fma_f64 v[213:214], v[169:170], s[18:19], v[163:164]
	v_fma_f64 v[163:164], v[169:170], s[18:19], -v[163:164]
	v_fma_f64 v[215:216], v[169:170], s[0:1], v[167:168]
	v_fma_f64 v[167:168], v[169:170], s[0:1], -v[167:168]
	v_mul_f64 v[169:170], v[173:174], s[26:27]
	v_mul_f64 v[173:174], v[173:174], s[8:9]
	v_add_f64 v[118:119], v[127:128], v[118:119]
	v_add_f64 v[80:81], v[159:160], v[80:81]
	;; [unrolled: 1-line block ×3, first 2 shown]
	v_mul_f64 v[131:132], v[191:192], s[8:9]
	v_fma_f64 v[151:152], v[187:188], s[0:1], -v[141:142]
	v_fma_f64 v[141:142], v[187:188], s[0:1], v[141:142]
	v_add_f64 v[159:160], v[76:77], v[84:85]
	v_add_f64 v[94:95], v[217:218], v[94:95]
	;; [unrolled: 1-line block ×9, first 2 shown]
	v_fma_f64 v[221:222], v[175:176], s[24:25], -v[169:170]
	v_fma_f64 v[169:170], v[175:176], s[24:25], v[169:170]
	v_fma_f64 v[223:224], v[175:176], s[0:1], -v[173:174]
	v_fma_f64 v[173:174], v[175:176], s[0:1], v[173:174]
	v_mul_f64 v[175:176], v[179:180], s[26:27]
	v_mul_f64 v[179:180], v[179:180], s[8:9]
	;; [unrolled: 1-line block ×3, first 2 shown]
	v_fma_f64 v[135:136], v[193:194], s[2:3], v[88:89]
	v_fma_f64 v[137:138], v[193:194], s[2:3], -v[88:89]
	v_fma_f64 v[88:89], v[193:194], s[18:19], v[90:91]
	v_fma_f64 v[157:158], v[193:194], s[0:1], v[131:132]
	v_fma_f64 v[131:132], v[193:194], s[0:1], -v[131:132]
	v_add_f64 v[80:81], v[96:97], v[80:81]
	v_add_f64 v[125:126], v[100:101], v[125:126]
	;; [unrolled: 1-line block ×10, first 2 shown]
	v_fma_f64 v[229:230], v[181:182], s[24:25], v[175:176]
	v_fma_f64 v[231:232], v[181:182], s[0:1], v[179:180]
	v_fma_f64 v[179:180], v[181:182], s[0:1], -v[179:180]
	v_fma_f64 v[90:91], v[193:194], s[10:11], v[129:130]
	v_fma_f64 v[129:130], v[193:194], s[10:11], -v[129:130]
	v_fma_f64 v[175:176], v[181:182], s[24:25], -v[175:176]
	v_add_f64 v[102:103], v[135:136], v[110:111]
	v_add_f64 v[96:97], v[145:146], v[80:81]
	;; [unrolled: 1-line block ×17, first 2 shown]
	buffer_load_dword v108, off, s[60:63], 0 offset:8 ; 4-byte Folded Reload
	v_add_f64 v[82:83], v[90:91], v[133:134]
	v_add_f64 v[90:91], v[131:132], v[118:119]
	s_waitcnt vmcnt(0)
	v_lshl_add_u32 v153, v153, 4, v108
	ds_write_b128 v153, v[72:75] offset:272
	ds_write_b128 v153, v[100:103] offset:544
	;; [unrolled: 1-line block ×10, first 2 shown]
	ds_write_b128 v153, v[64:67]
	s_waitcnt lgkmcnt(0)
	s_barrier
	buffer_gl0_inv
	s_and_saveexec_b32 s1, vcc_lo
	s_cbranch_execz .LBB0_9
; %bb.8:
	s_add_u32 s2, s12, 0xbb0
	s_addc_u32 s3, s13, 0
	v_add_co_u32 v160, s0, s2, v255
	s_clause 0xb
	global_load_dwordx4 v[108:111], v255, s[2:3]
	global_load_dwordx4 v[112:115], v255, s[2:3] offset:176
	global_load_dwordx4 v[116:119], v255, s[2:3] offset:352
	global_load_dwordx4 v[121:124], v255, s[2:3] offset:528
	global_load_dwordx4 v[125:128], v255, s[2:3] offset:704
	global_load_dwordx4 v[129:132], v255, s[2:3] offset:880
	global_load_dwordx4 v[133:136], v255, s[2:3] offset:1056
	global_load_dwordx4 v[137:140], v255, s[2:3] offset:1232
	global_load_dwordx4 v[141:144], v255, s[2:3] offset:1408
	global_load_dwordx4 v[145:148], v255, s[2:3] offset:1584
	global_load_dwordx4 v[149:152], v255, s[2:3] offset:1760
	global_load_dwordx4 v[155:158], v255, s[2:3] offset:1936
	v_add_co_ci_u32_e64 v161, null, s3, 0, s0
	v_add_co_u32 v175, s0, 0x800, v160
	v_or_b32_e32 v159, 0xb00, v255
	v_add_co_ci_u32_e64 v176, s0, 0, v161, s0
	s_clause 0x4
	global_load_dwordx4 v[159:162], v159, s[2:3]
	global_load_dwordx4 v[163:166], v[175:176], off offset:64
	global_load_dwordx4 v[167:170], v[175:176], off offset:240
	;; [unrolled: 1-line block ×4, first 2 shown]
	ds_read_b128 v[179:182], v153
	ds_read_b128 v[183:186], v153 offset:176
	ds_read_b128 v[187:190], v153 offset:352
	;; [unrolled: 1-line block ×7, first 2 shown]
	s_waitcnt vmcnt(16) lgkmcnt(7)
	v_mul_f64 v[211:212], v[181:182], v[110:111]
	v_mul_f64 v[110:111], v[179:180], v[110:111]
	s_waitcnt vmcnt(15) lgkmcnt(6)
	v_mul_f64 v[213:214], v[185:186], v[114:115]
	v_mul_f64 v[114:115], v[183:184], v[114:115]
	;; [unrolled: 3-line block ×3, first 2 shown]
	s_waitcnt vmcnt(13) lgkmcnt(4)
	v_mul_f64 v[217:218], v[193:194], v[123:124]
	s_waitcnt vmcnt(12) lgkmcnt(3)
	v_mul_f64 v[219:220], v[197:198], v[127:128]
	v_mul_f64 v[123:124], v[191:192], v[123:124]
	s_waitcnt vmcnt(11) lgkmcnt(2)
	v_mul_f64 v[221:222], v[201:202], v[131:132]
	v_mul_f64 v[127:128], v[195:196], v[127:128]
	;; [unrolled: 1-line block ×3, first 2 shown]
	s_waitcnt vmcnt(10) lgkmcnt(1)
	v_mul_f64 v[223:224], v[205:206], v[135:136]
	v_mul_f64 v[135:136], v[203:204], v[135:136]
	v_fma_f64 v[179:180], v[179:180], v[108:109], -v[211:212]
	v_fma_f64 v[181:182], v[181:182], v[108:109], v[110:111]
	ds_read_b128 v[108:111], v153 offset:1408
	v_fma_f64 v[183:184], v[183:184], v[112:113], -v[213:214]
	v_fma_f64 v[185:186], v[185:186], v[112:113], v[114:115]
	ds_read_b128 v[112:115], v153 offset:1584
	ds_read_b128 v[211:214], v153 offset:1760
	s_waitcnt vmcnt(9) lgkmcnt(3)
	v_mul_f64 v[225:226], v[209:210], v[139:140]
	v_mul_f64 v[139:140], v[207:208], v[139:140]
	v_fma_f64 v[187:188], v[187:188], v[116:117], -v[215:216]
	v_fma_f64 v[189:190], v[189:190], v[116:117], v[118:119]
	v_fma_f64 v[116:117], v[191:192], v[121:122], -v[217:218]
	v_fma_f64 v[191:192], v[195:196], v[125:126], -v[219:220]
	v_fma_f64 v[118:119], v[193:194], v[121:122], v[123:124]
	ds_read_b128 v[121:124], v153 offset:1936
	v_fma_f64 v[199:200], v[199:200], v[129:130], -v[221:222]
	v_fma_f64 v[193:194], v[197:198], v[125:126], v[127:128]
	ds_read_b128 v[125:128], v153 offset:2112
	ds_read_b128 v[195:198], v153 offset:2288
	v_fma_f64 v[201:202], v[201:202], v[129:130], v[131:132]
	ds_read_b128 v[129:132], v153 offset:2816
	v_fma_f64 v[203:204], v[203:204], v[133:134], -v[223:224]
	v_fma_f64 v[205:206], v[205:206], v[133:134], v[135:136]
	s_waitcnt vmcnt(8) lgkmcnt(6)
	v_mul_f64 v[219:220], v[110:111], v[143:144]
	v_mul_f64 v[143:144], v[108:109], v[143:144]
	ds_read_b128 v[133:136], v153 offset:2464
	ds_read_b128 v[215:218], v153 offset:2640
	s_waitcnt vmcnt(7) lgkmcnt(7)
	v_mul_f64 v[221:222], v[114:115], v[147:148]
	v_mul_f64 v[147:148], v[112:113], v[147:148]
	v_fma_f64 v[207:208], v[207:208], v[137:138], -v[225:226]
	v_fma_f64 v[209:210], v[209:210], v[137:138], v[139:140]
	s_waitcnt vmcnt(6) lgkmcnt(6)
	v_mul_f64 v[137:138], v[213:214], v[151:152]
	v_mul_f64 v[139:140], v[211:212], v[151:152]
	s_waitcnt vmcnt(5) lgkmcnt(5)
	v_mul_f64 v[151:152], v[123:124], v[157:158]
	v_mul_f64 v[157:158], v[121:122], v[157:158]
	v_fma_f64 v[108:109], v[108:109], v[141:142], -v[219:220]
	v_fma_f64 v[110:111], v[110:111], v[141:142], v[143:144]
	s_waitcnt vmcnt(3) lgkmcnt(4)
	v_mul_f64 v[143:144], v[127:128], v[165:166]
	v_mul_f64 v[165:166], v[125:126], v[165:166]
	s_waitcnt lgkmcnt(2)
	v_mul_f64 v[141:142], v[131:132], v[161:162]
	s_waitcnt vmcnt(2)
	v_mul_f64 v[219:220], v[197:198], v[169:170]
	v_fma_f64 v[112:113], v[112:113], v[145:146], -v[221:222]
	v_fma_f64 v[114:115], v[114:115], v[145:146], v[147:148]
	v_mul_f64 v[145:146], v[195:196], v[169:170]
	s_waitcnt vmcnt(1) lgkmcnt(1)
	v_mul_f64 v[147:148], v[135:136], v[173:174]
	v_mul_f64 v[169:170], v[133:134], v[173:174]
	s_waitcnt vmcnt(0) lgkmcnt(0)
	v_mul_f64 v[173:174], v[217:218], v[177:178]
	v_fma_f64 v[137:138], v[211:212], v[149:150], -v[137:138]
	v_fma_f64 v[139:140], v[213:214], v[149:150], v[139:140]
	v_mul_f64 v[149:150], v[215:216], v[177:178]
	v_mul_f64 v[161:162], v[129:130], v[161:162]
	v_fma_f64 v[121:122], v[121:122], v[155:156], -v[151:152]
	v_fma_f64 v[123:124], v[123:124], v[155:156], v[157:158]
	v_fma_f64 v[125:126], v[125:126], v[163:164], -v[143:144]
	v_fma_f64 v[127:128], v[127:128], v[163:164], v[165:166]
	v_fma_f64 v[129:130], v[129:130], v[159:160], -v[141:142]
	v_fma_f64 v[141:142], v[195:196], v[167:168], -v[219:220]
	v_fma_f64 v[143:144], v[197:198], v[167:168], v[145:146]
	v_fma_f64 v[133:134], v[133:134], v[171:172], -v[147:148]
	v_fma_f64 v[135:136], v[135:136], v[171:172], v[169:170]
	;; [unrolled: 2-line block ×3, first 2 shown]
	v_fma_f64 v[131:132], v[131:132], v[159:160], v[161:162]
	ds_write_b128 v153, v[179:182]
	ds_write_b128 v153, v[183:186] offset:176
	ds_write_b128 v153, v[187:190] offset:352
	ds_write_b128 v153, v[116:119] offset:528
	ds_write_b128 v153, v[191:194] offset:704
	ds_write_b128 v153, v[199:202] offset:880
	ds_write_b128 v153, v[203:206] offset:1056
	ds_write_b128 v153, v[207:210] offset:1232
	ds_write_b128 v153, v[108:111] offset:1408
	ds_write_b128 v153, v[112:115] offset:1584
	ds_write_b128 v153, v[137:140] offset:1760
	ds_write_b128 v153, v[121:124] offset:1936
	ds_write_b128 v153, v[125:128] offset:2112
	ds_write_b128 v153, v[141:144] offset:2288
	ds_write_b128 v153, v[133:136] offset:2464
	ds_write_b128 v153, v[145:148] offset:2640
	ds_write_b128 v153, v[129:132] offset:2816
.LBB0_9:
	s_or_b32 exec_lo, exec_lo, s1
	s_waitcnt lgkmcnt(0)
	s_barrier
	buffer_gl0_inv
	s_and_saveexec_b32 s0, vcc_lo
	s_cbranch_execz .LBB0_11
; %bb.10:
	ds_read_b128 v[64:67], v153
	ds_read_b128 v[72:75], v153 offset:176
	ds_read_b128 v[100:103], v153 offset:352
	;; [unrolled: 1-line block ×16, first 2 shown]
.LBB0_11:
	s_or_b32 exec_lo, exec_lo, s0
	s_waitcnt lgkmcnt(0)
	s_barrier
	buffer_gl0_inv
	s_and_saveexec_b32 s33, vcc_lo
	s_cbranch_execz .LBB0_13
; %bb.12:
	v_add_f64 v[108:109], v[66:67], v[74:75]
	v_add_f64 v[110:111], v[64:65], v[72:73]
	v_add_f64 v[145:146], v[72:73], -v[0:1]
	v_add_f64 v[147:148], v[74:75], -v[2:3]
	s_mov_b32 s2, 0xacd6c6b4
	s_mov_b32 s3, 0xbfc7851a
	v_add_f64 v[121:122], v[100:101], -v[4:5]
	v_add_f64 v[149:150], v[74:75], v[2:3]
	v_add_f64 v[118:119], v[102:103], -v[6:7]
	v_add_f64 v[151:152], v[72:73], v[0:1]
	s_mov_b32 s8, 0x5d8e7cdc
	s_mov_b32 s0, 0x7faef3
	;; [unrolled: 1-line block ×4, first 2 shown]
	v_add_f64 v[129:130], v[92:93], -v[8:9]
	v_add_f64 v[133:134], v[102:103], v[6:7]
	v_add_f64 v[127:128], v[94:95], -v[10:11]
	v_add_f64 v[131:132], v[100:101], v[4:5]
	s_mov_b32 s16, 0x4363dd80
	s_mov_b32 s10, 0x370991
	;; [unrolled: 1-line block ×4, first 2 shown]
	v_add_f64 v[108:109], v[108:109], v[102:103]
	v_add_f64 v[110:111], v[110:111], v[100:101]
	v_mul_f64 v[74:75], v[145:146], s[2:3]
	v_mul_f64 v[72:73], v[147:148], s[2:3]
	v_add_f64 v[102:103], v[106:107], -v[98:99]
	v_add_f64 v[100:101], v[104:105], v[96:97]
	v_mul_f64 v[139:140], v[121:122], s[8:9]
	v_add_f64 v[137:138], v[94:95], v[10:11]
	v_mul_f64 v[155:156], v[118:119], s[8:9]
	s_mov_b32 s22, 0x2a9d6da3
	s_mov_b32 s18, 0x910ea3b9
	;; [unrolled: 1-line block ×4, first 2 shown]
	v_add_f64 v[114:115], v[88:89], -v[68:69]
	v_mul_f64 v[161:162], v[129:130], s[16:17]
	v_add_f64 v[116:117], v[84:85], -v[20:21]
	v_mul_f64 v[163:164], v[127:128], s[16:17]
	v_add_f64 v[112:113], v[86:87], v[22:23]
	v_add_f64 v[125:126], v[80:81], -v[16:17]
	s_mov_b32 s26, 0x6c9a05f6
	s_mov_b32 s20, 0x75d4884
	;; [unrolled: 1-line block ×3, first 2 shown]
	v_add_f64 v[108:109], v[108:109], v[94:95]
	v_add_f64 v[110:111], v[110:111], v[92:93]
	v_fma_f64 v[141:142], v[149:150], s[0:1], v[74:75]
	v_fma_f64 v[143:144], v[151:152], s[0:1], -v[72:73]
	v_fma_f64 v[74:75], v[149:150], s[0:1], -v[74:75]
	v_fma_f64 v[72:73], v[151:152], s[0:1], v[72:73]
	v_fma_f64 v[165:166], v[133:134], s[10:11], v[139:140]
	v_fma_f64 v[171:172], v[133:134], s[10:11], -v[139:140]
	v_fma_f64 v[167:168], v[131:132], s[10:11], -v[155:156]
	v_add_f64 v[139:140], v[82:83], -v[18:19]
	v_add_f64 v[94:95], v[84:85], v[20:21]
	s_mov_b32 s21, 0x3fe7a5f6
	s_mov_b32 s24, 0x6ed5f1bb
	;; [unrolled: 1-line block ×11, first 2 shown]
	v_add_f64 v[108:109], v[108:109], v[78:79]
	v_add_f64 v[110:111], v[110:111], v[76:77]
	;; [unrolled: 1-line block ×8, first 2 shown]
	s_mov_b32 s43, 0x3fefdd0d
	s_mov_b32 s37, 0xbfd183b1
	;; [unrolled: 1-line block ×14, first 2 shown]
	v_add_f64 v[108:109], v[108:109], v[82:83]
	v_add_f64 v[110:111], v[110:111], v[80:81]
	s_mov_b32 s55, 0x3fe0d888
	s_mov_b32 s54, s16
	v_add_f64 v[74:75], v[171:172], v[74:75]
	s_mov_b32 s53, 0xbfeca52d
	s_mov_b32 s52, s30
	v_add_f64 v[108:109], v[108:109], v[86:87]
	v_add_f64 v[110:111], v[110:111], v[84:85]
	;; [unrolled: 1-line block ×5, first 2 shown]
	v_add_f64 v[110:111], v[104:105], -v[96:97]
	v_add_f64 v[108:109], v[106:107], v[98:99]
	v_add_f64 v[88:89], v[167:168], v[173:174]
	;; [unrolled: 1-line block ×4, first 2 shown]
	v_add_f64 v[135:136], v[76:77], -v[12:13]
	v_add_f64 v[104:105], v[78:79], -v[14:15]
	v_add_f64 v[106:107], v[92:93], v[8:9]
	v_add_f64 v[123:124], v[82:83], v[18:19]
	v_add_f64 v[92:93], v[90:91], -v[70:71]
	v_fma_f64 v[78:79], v[131:132], s[10:11], v[155:156]
	v_fma_f64 v[82:83], v[137:138], s[18:19], v[161:162]
	v_fma_f64 v[161:162], v[137:138], s[18:19], -v[161:162]
	v_add_f64 v[157:158], v[157:158], v[98:99]
	v_add_f64 v[159:160], v[159:160], v[96:97]
	v_add_f64 v[96:97], v[86:87], -v[22:23]
	v_add_f64 v[98:99], v[80:81], v[16:17]
	v_add_f64 v[86:87], v[90:91], v[70:71]
	v_mul_f64 v[76:77], v[135:136], s[22:23]
	v_add_f64 v[80:81], v[165:166], v[169:170]
	v_fma_f64 v[90:91], v[106:107], s[18:19], -v[163:164]
	v_mul_f64 v[155:156], v[104:105], s[22:23]
	v_add_f64 v[72:73], v[78:79], v[72:73]
	v_mul_f64 v[78:79], v[125:126], s[26:27]
	v_fma_f64 v[163:164], v[106:107], s[18:19], v[163:164]
	v_add_f64 v[74:75], v[161:162], v[74:75]
	v_mul_f64 v[161:162], v[139:140], s[26:27]
	v_add_f64 v[157:158], v[157:158], v[70:71]
	v_add_f64 v[159:160], v[159:160], v[68:69]
	;; [unrolled: 1-line block ×3, first 2 shown]
	v_fma_f64 v[82:83], v[143:144], s[20:21], v[76:77]
	v_add_f64 v[88:89], v[90:91], v[88:89]
	v_fma_f64 v[90:91], v[141:142], s[20:21], -v[155:156]
	v_fma_f64 v[76:77], v[143:144], s[20:21], -v[76:77]
	v_fma_f64 v[155:156], v[141:142], s[20:21], v[155:156]
	v_add_f64 v[72:73], v[163:164], v[72:73]
	v_mul_f64 v[163:164], v[116:117], s[30:31]
	v_add_f64 v[22:23], v[157:158], v[22:23]
	v_add_f64 v[20:21], v[159:160], v[20:21]
	v_mul_f64 v[157:158], v[118:119], s[48:49]
	v_mul_f64 v[159:160], v[129:130], s[44:45]
	v_add_f64 v[80:81], v[82:83], v[80:81]
	v_fma_f64 v[82:83], v[123:124], s[24:25], v[78:79]
	v_add_f64 v[88:89], v[90:91], v[88:89]
	v_fma_f64 v[90:91], v[98:99], s[24:25], -v[161:162]
	v_add_f64 v[74:75], v[76:77], v[74:75]
	v_mul_f64 v[76:77], v[96:97], s[30:31]
	v_fma_f64 v[78:79], v[123:124], s[24:25], -v[78:79]
	v_fma_f64 v[161:162], v[98:99], s[24:25], v[161:162]
	v_add_f64 v[72:73], v[155:156], v[72:73]
	v_mul_f64 v[155:156], v[114:115], s[38:39]
	v_add_f64 v[18:19], v[22:23], v[18:19]
	v_add_f64 v[16:17], v[20:21], v[16:17]
	;; [unrolled: 1-line block ×3, first 2 shown]
	v_fma_f64 v[82:83], v[112:113], s[28:29], v[163:164]
	v_add_f64 v[88:89], v[90:91], v[88:89]
	v_fma_f64 v[163:164], v[112:113], s[28:29], -v[163:164]
	v_fma_f64 v[90:91], v[94:95], s[28:29], -v[76:77]
	v_add_f64 v[74:75], v[78:79], v[74:75]
	v_mul_f64 v[78:79], v[92:93], s[38:39]
	v_fma_f64 v[76:77], v[94:95], s[28:29], v[76:77]
	v_add_f64 v[72:73], v[161:162], v[72:73]
	v_mul_f64 v[161:162], v[110:111], s[42:43]
	v_add_f64 v[80:81], v[82:83], v[80:81]
	v_mul_f64 v[82:83], v[102:103], s[42:43]
	v_add_f64 v[88:89], v[90:91], v[88:89]
	v_fma_f64 v[90:91], v[86:87], s[36:37], v[155:156]
	v_add_f64 v[74:75], v[163:164], v[74:75]
	v_fma_f64 v[163:164], v[84:85], s[36:37], -v[78:79]
	v_add_f64 v[72:73], v[76:77], v[72:73]
	v_mul_f64 v[76:77], v[145:146], s[16:17]
	v_fma_f64 v[155:156], v[86:87], s[36:37], -v[155:156]
	v_fma_f64 v[78:79], v[84:85], s[36:37], v[78:79]
	v_fma_f64 v[68:69], v[108:109], s[34:35], v[161:162]
	v_fma_f64 v[161:162], v[108:109], s[34:35], -v[161:162]
	v_fma_f64 v[165:166], v[100:101], s[34:35], -v[82:83]
	v_fma_f64 v[82:83], v[100:101], s[34:35], v[82:83]
	v_add_f64 v[70:71], v[90:91], v[80:81]
	v_mul_f64 v[90:91], v[121:122], s[30:31]
	v_add_f64 v[80:81], v[163:164], v[88:89]
	v_mul_f64 v[88:89], v[147:148], s[16:17]
	;; [unrolled: 2-line block ×3, first 2 shown]
	v_add_f64 v[72:73], v[78:79], v[72:73]
	v_fma_f64 v[78:79], v[149:150], s[18:19], v[76:77]
	v_fma_f64 v[76:77], v[149:150], s[18:19], -v[76:77]
	v_add_f64 v[70:71], v[68:69], v[70:71]
	v_fma_f64 v[163:164], v[133:134], s[28:29], v[90:91]
	v_add_f64 v[68:69], v[165:166], v[80:81]
	v_fma_f64 v[80:81], v[151:152], s[18:19], -v[88:89]
	v_fma_f64 v[88:89], v[151:152], s[18:19], v[88:89]
	v_add_f64 v[74:75], v[161:162], v[74:75]
	v_mul_f64 v[161:162], v[129:130], s[40:41]
	v_add_f64 v[72:73], v[82:83], v[72:73]
	v_add_f64 v[78:79], v[66:67], v[78:79]
	v_fma_f64 v[82:83], v[131:132], s[28:29], -v[155:156]
	v_fma_f64 v[90:91], v[133:134], s[28:29], -v[90:91]
	v_fma_f64 v[155:156], v[131:132], s[28:29], v[155:156]
	v_add_f64 v[76:77], v[66:67], v[76:77]
	v_add_f64 v[80:81], v[64:65], v[80:81]
	;; [unrolled: 1-line block ×4, first 2 shown]
	v_mul_f64 v[163:164], v[127:128], s[40:41]
	v_add_f64 v[76:77], v[90:91], v[76:77]
	v_mul_f64 v[90:91], v[135:136], s[46:47]
	v_add_f64 v[80:81], v[82:83], v[80:81]
	v_fma_f64 v[82:83], v[137:138], s[34:35], v[161:162]
	v_add_f64 v[88:89], v[155:156], v[88:89]
	v_fma_f64 v[161:162], v[137:138], s[34:35], -v[161:162]
	v_fma_f64 v[155:156], v[106:107], s[34:35], -v[163:164]
	v_fma_f64 v[163:164], v[106:107], s[34:35], v[163:164]
	v_add_f64 v[78:79], v[82:83], v[78:79]
	v_mul_f64 v[82:83], v[104:105], s[46:47]
	v_add_f64 v[76:77], v[161:162], v[76:77]
	v_add_f64 v[80:81], v[155:156], v[80:81]
	v_fma_f64 v[155:156], v[143:144], s[24:25], v[90:91]
	v_add_f64 v[88:89], v[163:164], v[88:89]
	v_mul_f64 v[163:164], v[125:126], s[44:45]
	v_fma_f64 v[90:91], v[143:144], s[24:25], -v[90:91]
	v_fma_f64 v[161:162], v[141:142], s[24:25], -v[82:83]
	v_fma_f64 v[82:83], v[141:142], s[24:25], v[82:83]
	v_add_f64 v[78:79], v[155:156], v[78:79]
	v_mul_f64 v[155:156], v[139:140], s[44:45]
	v_add_f64 v[76:77], v[90:91], v[76:77]
	v_add_f64 v[80:81], v[161:162], v[80:81]
	v_fma_f64 v[161:162], v[123:124], s[10:11], v[163:164]
	v_fma_f64 v[163:164], v[123:124], s[10:11], -v[163:164]
	v_add_f64 v[82:83], v[82:83], v[88:89]
	v_mul_f64 v[88:89], v[114:115], s[22:23]
	v_fma_f64 v[90:91], v[98:99], s[10:11], -v[155:156]
	v_fma_f64 v[155:156], v[98:99], s[10:11], v[155:156]
	v_add_f64 v[78:79], v[161:162], v[78:79]
	v_mul_f64 v[161:162], v[116:117], s[2:3]
	v_add_f64 v[76:77], v[163:164], v[76:77]
	v_fma_f64 v[163:164], v[86:87], s[20:21], v[88:89]
	v_fma_f64 v[88:89], v[86:87], s[20:21], -v[88:89]
	v_add_f64 v[80:81], v[90:91], v[80:81]
	v_add_f64 v[82:83], v[155:156], v[82:83]
	v_mul_f64 v[155:156], v[92:93], s[22:23]
	v_fma_f64 v[90:91], v[112:113], s[0:1], v[161:162]
	v_fma_f64 v[161:162], v[112:113], s[0:1], -v[161:162]
	v_add_f64 v[78:79], v[90:91], v[78:79]
	v_mul_f64 v[90:91], v[96:97], s[2:3]
	v_add_f64 v[76:77], v[161:162], v[76:77]
	v_mul_f64 v[161:162], v[110:111], s[38:39]
	v_add_f64 v[78:79], v[163:164], v[78:79]
	v_fma_f64 v[165:166], v[94:95], s[0:1], -v[90:91]
	v_fma_f64 v[90:91], v[94:95], s[0:1], v[90:91]
	v_fma_f64 v[163:164], v[84:85], s[20:21], -v[155:156]
	v_fma_f64 v[155:156], v[84:85], s[20:21], v[155:156]
	v_add_f64 v[88:89], v[88:89], v[76:77]
	v_add_f64 v[80:81], v[165:166], v[80:81]
	;; [unrolled: 1-line block ×3, first 2 shown]
	v_mul_f64 v[90:91], v[102:103], s[38:39]
	v_add_f64 v[80:81], v[163:164], v[80:81]
	v_fma_f64 v[163:164], v[108:109], s[36:37], v[161:162]
	v_fma_f64 v[76:77], v[100:101], s[36:37], -v[90:91]
	v_add_f64 v[155:156], v[155:156], v[82:83]
	v_fma_f64 v[82:83], v[108:109], s[36:37], -v[161:162]
	v_fma_f64 v[90:91], v[100:101], s[36:37], v[90:91]
	v_mul_f64 v[161:162], v[145:146], s[26:27]
	v_add_f64 v[78:79], v[163:164], v[78:79]
	v_mul_f64 v[163:164], v[147:148], s[26:27]
	v_add_f64 v[76:77], v[76:77], v[80:81]
	v_add_f64 v[82:83], v[82:83], v[88:89]
	v_add_f64 v[80:81], v[90:91], v[155:156]
	v_mul_f64 v[88:89], v[121:122], s[48:49]
	v_fma_f64 v[90:91], v[149:150], s[24:25], v[161:162]
	v_fma_f64 v[161:162], v[149:150], s[24:25], -v[161:162]
	v_fma_f64 v[155:156], v[151:152], s[24:25], -v[163:164]
	v_fma_f64 v[20:21], v[133:134], s[36:37], v[88:89]
	v_add_f64 v[22:23], v[66:67], v[90:91]
	v_fma_f64 v[88:89], v[133:134], s[36:37], -v[88:89]
	v_add_f64 v[161:162], v[66:67], v[161:162]
	v_add_f64 v[90:91], v[64:65], v[155:156]
	v_fma_f64 v[155:156], v[131:132], s[36:37], -v[157:158]
	v_fma_f64 v[157:158], v[131:132], s[36:37], v[157:158]
	v_add_f64 v[20:21], v[20:21], v[22:23]
	v_add_f64 v[88:89], v[88:89], v[161:162]
	v_fma_f64 v[161:162], v[151:152], s[24:25], v[163:164]
	v_add_f64 v[22:23], v[155:156], v[90:91]
	v_fma_f64 v[90:91], v[137:138], s[10:11], v[159:160]
	v_mul_f64 v[155:156], v[127:128], s[44:45]
	v_fma_f64 v[159:160], v[137:138], s[10:11], -v[159:160]
	v_add_f64 v[161:162], v[64:65], v[161:162]
	v_add_f64 v[20:21], v[90:91], v[20:21]
	v_fma_f64 v[90:91], v[106:107], s[10:11], -v[155:156]
	v_add_f64 v[88:89], v[159:160], v[88:89]
	v_fma_f64 v[155:156], v[106:107], s[10:11], v[155:156]
	v_add_f64 v[157:158], v[157:158], v[161:162]
	v_add_f64 v[22:23], v[90:91], v[22:23]
	v_mul_f64 v[90:91], v[135:136], s[16:17]
	v_add_f64 v[155:156], v[155:156], v[157:158]
	v_mul_f64 v[157:158], v[114:115], s[2:3]
	v_fma_f64 v[165:166], v[143:144], s[18:19], v[90:91]
	v_fma_f64 v[90:91], v[143:144], s[18:19], -v[90:91]
	v_add_f64 v[20:21], v[165:166], v[20:21]
	v_mul_f64 v[165:166], v[104:105], s[16:17]
	v_add_f64 v[88:89], v[90:91], v[88:89]
	v_fma_f64 v[167:168], v[141:142], s[18:19], -v[165:166]
	v_fma_f64 v[90:91], v[141:142], s[18:19], v[165:166]
	v_add_f64 v[165:166], v[18:19], v[14:15]
	v_add_f64 v[22:23], v[167:168], v[22:23]
	v_mul_f64 v[167:168], v[125:126], s[42:43]
	v_add_f64 v[90:91], v[90:91], v[155:156]
	v_add_f64 v[10:11], v[165:166], v[10:11]
	v_mul_f64 v[165:166], v[147:148], s[40:41]
	v_fma_f64 v[169:170], v[123:124], s[34:35], v[167:168]
	v_fma_f64 v[155:156], v[123:124], s[34:35], -v[167:168]
	v_add_f64 v[6:7], v[10:11], v[6:7]
	v_mul_f64 v[167:168], v[145:146], s[40:41]
	v_add_f64 v[20:21], v[169:170], v[20:21]
	v_mul_f64 v[169:170], v[139:140], s[42:43]
	v_add_f64 v[88:89], v[155:156], v[88:89]
	v_fma_f64 v[155:156], v[86:87], s[0:1], v[157:158]
	v_fma_f64 v[157:158], v[86:87], s[0:1], -v[157:158]
	v_fma_f64 v[171:172], v[98:99], s[34:35], -v[169:170]
	v_fma_f64 v[159:160], v[98:99], s[34:35], v[169:170]
	v_mul_f64 v[169:170], v[147:148], s[50:51]
	v_add_f64 v[22:23], v[171:172], v[22:23]
	v_mul_f64 v[171:172], v[116:117], s[50:51]
	v_add_f64 v[90:91], v[159:160], v[90:91]
	v_mul_f64 v[159:160], v[92:93], s[2:3]
	v_fma_f64 v[177:178], v[151:152], s[20:21], v[169:170]
	v_fma_f64 v[169:170], v[151:152], s[20:21], -v[169:170]
	v_fma_f64 v[173:174], v[112:113], s[20:21], v[171:172]
	v_fma_f64 v[161:162], v[112:113], s[20:21], -v[171:172]
	v_add_f64 v[177:178], v[64:65], v[177:178]
	v_add_f64 v[169:170], v[64:65], v[169:170]
	v_add_f64 v[20:21], v[173:174], v[20:21]
	v_mul_f64 v[173:174], v[96:97], s[50:51]
	v_add_f64 v[88:89], v[161:162], v[88:89]
	v_mul_f64 v[161:162], v[110:111], s[30:31]
	v_add_f64 v[20:21], v[155:156], v[20:21]
	v_fma_f64 v[163:164], v[94:95], s[20:21], v[173:174]
	v_fma_f64 v[175:176], v[94:95], s[20:21], -v[173:174]
	v_fma_f64 v[155:156], v[84:85], s[0:1], -v[159:160]
	v_fma_f64 v[159:160], v[84:85], s[0:1], v[159:160]
	v_add_f64 v[88:89], v[157:158], v[88:89]
	v_fma_f64 v[18:19], v[108:109], s[28:29], -v[161:162]
	v_fma_f64 v[173:174], v[151:152], s[34:35], -v[165:166]
	v_fma_f64 v[165:166], v[151:152], s[34:35], v[165:166]
	v_add_f64 v[90:91], v[163:164], v[90:91]
	v_add_f64 v[22:23], v[175:176], v[22:23]
	v_mul_f64 v[163:164], v[102:103], s[30:31]
	v_add_f64 v[18:19], v[18:19], v[88:89]
	v_add_f64 v[165:166], v[64:65], v[165:166]
	;; [unrolled: 1-line block ×5, first 2 shown]
	v_fma_f64 v[155:156], v[108:109], s[28:29], v[161:162]
	v_fma_f64 v[157:158], v[100:101], s[28:29], -v[163:164]
	v_fma_f64 v[161:162], v[100:101], s[28:29], v[163:164]
	v_mul_f64 v[163:164], v[145:146], s[38:39]
	v_add_f64 v[8:9], v[159:160], v[8:9]
	v_add_f64 v[14:15], v[155:156], v[20:21]
	v_mul_f64 v[20:21], v[145:146], s[52:53]
	v_add_f64 v[16:17], v[161:162], v[90:91]
	v_fma_f64 v[88:89], v[149:150], s[36:37], v[163:164]
	v_fma_f64 v[90:91], v[149:150], s[36:37], -v[163:164]
	v_add_f64 v[12:13], v[157:158], v[22:23]
	v_mul_f64 v[22:23], v[145:146], s[50:51]
	v_mul_f64 v[145:146], v[145:146], s[44:45]
	v_fma_f64 v[155:156], v[149:150], s[34:35], v[167:168]
	v_fma_f64 v[157:158], v[149:150], s[34:35], -v[167:168]
	v_mul_f64 v[167:168], v[147:148], s[52:53]
	v_add_f64 v[10:11], v[8:9], v[4:5]
	v_mul_f64 v[4:5], v[121:122], s[54:55]
	v_fma_f64 v[159:160], v[149:150], s[28:29], v[20:21]
	v_fma_f64 v[20:21], v[149:150], s[28:29], -v[20:21]
	v_add_f64 v[88:89], v[66:67], v[88:89]
	v_add_f64 v[90:91], v[66:67], v[90:91]
	v_fma_f64 v[161:162], v[149:150], s[20:21], -v[22:23]
	v_fma_f64 v[22:23], v[149:150], s[20:21], v[22:23]
	v_fma_f64 v[163:164], v[149:150], s[10:11], -v[145:146]
	v_fma_f64 v[145:146], v[149:150], s[10:11], v[145:146]
	v_mul_f64 v[149:150], v[147:148], s[38:39]
	v_mul_f64 v[147:148], v[147:148], s[44:45]
	v_fma_f64 v[175:176], v[151:152], s[28:29], -v[167:168]
	v_fma_f64 v[167:168], v[151:152], s[28:29], v[167:168]
	v_add_f64 v[155:156], v[66:67], v[155:156]
	v_add_f64 v[157:158], v[66:67], v[157:158]
	v_fma_f64 v[8:9], v[133:134], s[18:19], v[4:5]
	v_fma_f64 v[4:5], v[133:134], s[18:19], -v[4:5]
	v_add_f64 v[159:160], v[66:67], v[159:160]
	v_add_f64 v[20:21], v[66:67], v[20:21]
	;; [unrolled: 1-line block ×6, first 2 shown]
	v_fma_f64 v[171:172], v[151:152], s[36:37], -v[149:150]
	v_fma_f64 v[149:150], v[151:152], s[36:37], v[149:150]
	v_fma_f64 v[179:180], v[151:152], s[10:11], v[147:148]
	v_fma_f64 v[147:148], v[151:152], s[10:11], -v[147:148]
	v_add_f64 v[167:168], v[64:65], v[167:168]
	v_add_f64 v[8:9], v[8:9], v[88:89]
	v_mul_f64 v[88:89], v[129:130], s[22:23]
	v_add_f64 v[4:5], v[4:5], v[90:91]
	v_add_f64 v[151:152], v[64:65], v[171:172]
	;; [unrolled: 1-line block ×7, first 2 shown]
	v_fma_f64 v[90:91], v[137:138], s[20:21], v[88:89]
	v_fma_f64 v[88:89], v[137:138], s[20:21], -v[88:89]
	v_add_f64 v[8:9], v[90:91], v[8:9]
	v_add_f64 v[4:5], v[88:89], v[4:5]
	v_mul_f64 v[88:89], v[135:136], s[52:53]
	v_mul_f64 v[90:91], v[118:119], s[54:55]
	v_fma_f64 v[147:148], v[143:144], s[28:29], v[88:89]
	v_fma_f64 v[145:146], v[131:132], s[18:19], -v[90:91]
	v_fma_f64 v[88:89], v[143:144], s[28:29], -v[88:89]
	v_add_f64 v[8:9], v[147:148], v[8:9]
	v_mul_f64 v[147:148], v[127:128], s[22:23]
	v_add_f64 v[145:146], v[145:146], v[151:152]
	v_add_f64 v[4:5], v[88:89], v[4:5]
	v_mul_f64 v[88:89], v[125:126], s[2:3]
	v_fma_f64 v[151:152], v[106:107], s[20:21], -v[147:148]
	v_add_f64 v[145:146], v[151:152], v[145:146]
	v_fma_f64 v[151:152], v[123:124], s[0:1], v[88:89]
	v_fma_f64 v[88:89], v[123:124], s[0:1], -v[88:89]
	v_add_f64 v[8:9], v[151:152], v[8:9]
	v_mul_f64 v[151:152], v[104:105], s[52:53]
	v_add_f64 v[4:5], v[88:89], v[4:5]
	v_mul_f64 v[88:89], v[116:117], s[42:43]
	v_fma_f64 v[179:180], v[141:142], s[28:29], -v[151:152]
	v_fma_f64 v[151:152], v[141:142], s[28:29], v[151:152]
	v_add_f64 v[145:146], v[179:180], v[145:146]
	v_fma_f64 v[179:180], v[112:113], s[34:35], v[88:89]
	v_fma_f64 v[88:89], v[112:113], s[34:35], -v[88:89]
	v_add_f64 v[8:9], v[179:180], v[8:9]
	v_add_f64 v[4:5], v[88:89], v[4:5]
	v_fma_f64 v[88:89], v[131:132], s[18:19], v[90:91]
	v_mul_f64 v[90:91], v[114:115], s[44:45]
	v_mul_f64 v[179:180], v[139:140], s[2:3]
	v_add_f64 v[88:89], v[88:89], v[149:150]
	v_fma_f64 v[149:150], v[86:87], s[10:11], v[90:91]
	v_fma_f64 v[90:91], v[86:87], s[10:11], -v[90:91]
	v_fma_f64 v[181:182], v[98:99], s[0:1], -v[179:180]
	v_fma_f64 v[179:180], v[98:99], s[0:1], v[179:180]
	v_add_f64 v[8:9], v[149:150], v[8:9]
	v_add_f64 v[90:91], v[90:91], v[4:5]
	v_fma_f64 v[4:5], v[106:107], s[20:21], v[147:148]
	v_mul_f64 v[149:150], v[96:97], s[42:43]
	v_add_f64 v[145:146], v[181:182], v[145:146]
	s_mov_b32 s43, 0x3fc7851a
	s_mov_b32 s42, s2
	v_add_f64 v[4:5], v[4:5], v[88:89]
	v_mul_f64 v[88:89], v[121:122], s[2:3]
	v_fma_f64 v[181:182], v[94:95], s[34:35], -v[149:150]
	v_fma_f64 v[149:150], v[94:95], s[34:35], v[149:150]
	v_add_f64 v[4:5], v[151:152], v[4:5]
	v_fma_f64 v[147:148], v[133:134], s[0:1], v[88:89]
	v_fma_f64 v[88:89], v[133:134], s[0:1], -v[88:89]
	v_mul_f64 v[151:152], v[129:130], s[48:49]
	v_add_f64 v[145:146], v[181:182], v[145:146]
	v_add_f64 v[4:5], v[179:180], v[4:5]
	;; [unrolled: 1-line block ×3, first 2 shown]
	v_mul_f64 v[155:156], v[92:93], s[44:45]
	v_add_f64 v[88:89], v[88:89], v[157:158]
	v_fma_f64 v[157:158], v[137:138], s[36:37], v[151:152]
	v_fma_f64 v[151:152], v[137:138], s[36:37], -v[151:152]
	v_add_f64 v[4:5], v[149:150], v[4:5]
	v_mul_f64 v[149:150], v[118:119], s[26:27]
	v_fma_f64 v[181:182], v[84:85], s[10:11], -v[155:156]
	v_add_f64 v[147:148], v[157:158], v[147:148]
	v_add_f64 v[88:89], v[151:152], v[88:89]
	v_mul_f64 v[151:152], v[135:136], s[8:9]
	v_mul_f64 v[157:158], v[127:128], s[48:49]
	v_add_f64 v[145:146], v[181:182], v[145:146]
	v_mul_f64 v[181:182], v[118:119], s[2:3]
	v_fma_f64 v[179:180], v[143:144], s[10:11], v[151:152]
	v_fma_f64 v[151:152], v[143:144], s[10:11], -v[151:152]
	v_fma_f64 v[183:184], v[131:132], s[0:1], -v[181:182]
	v_add_f64 v[147:148], v[179:180], v[147:148]
	v_fma_f64 v[179:180], v[131:132], s[0:1], v[181:182]
	v_add_f64 v[88:89], v[151:152], v[88:89]
	v_mul_f64 v[151:152], v[125:126], s[52:53]
	v_add_f64 v[171:172], v[183:184], v[171:172]
	v_fma_f64 v[183:184], v[106:107], s[36:37], -v[157:158]
	v_fma_f64 v[157:158], v[106:107], s[36:37], v[157:158]
	v_add_f64 v[165:166], v[179:180], v[165:166]
	v_mul_f64 v[179:180], v[121:122], s[26:27]
	v_add_f64 v[171:172], v[183:184], v[171:172]
	v_add_f64 v[157:158], v[157:158], v[165:166]
	v_fma_f64 v[181:182], v[133:134], s[24:25], v[179:180]
	v_fma_f64 v[179:180], v[133:134], s[24:25], -v[179:180]
	v_mul_f64 v[165:166], v[129:130], s[42:43]
	v_add_f64 v[159:160], v[181:182], v[159:160]
	v_mul_f64 v[181:182], v[104:105], s[8:9]
	v_add_f64 v[20:21], v[179:180], v[20:21]
	v_fma_f64 v[179:180], v[137:138], s[0:1], v[165:166]
	v_fma_f64 v[165:166], v[137:138], s[0:1], -v[165:166]
	v_fma_f64 v[183:184], v[141:142], s[10:11], -v[181:182]
	v_add_f64 v[159:160], v[179:180], v[159:160]
	v_mul_f64 v[179:180], v[139:140], s[52:53]
	v_add_f64 v[20:21], v[165:166], v[20:21]
	v_fma_f64 v[165:166], v[141:142], s[10:11], v[181:182]
	v_add_f64 v[171:172], v[183:184], v[171:172]
	v_fma_f64 v[183:184], v[131:132], s[24:25], -v[149:150]
	v_fma_f64 v[149:150], v[131:132], s[24:25], v[149:150]
	v_add_f64 v[157:158], v[165:166], v[157:158]
	v_mul_f64 v[165:166], v[135:136], s[48:49]
	v_add_f64 v[173:174], v[183:184], v[173:174]
	v_fma_f64 v[183:184], v[123:124], s[28:29], v[151:152]
	v_fma_f64 v[151:152], v[123:124], s[28:29], -v[151:152]
	v_add_f64 v[149:150], v[149:150], v[167:168]
	v_mul_f64 v[167:168], v[104:105], s[48:49]
	v_fma_f64 v[181:182], v[143:144], s[36:37], v[165:166]
	v_add_f64 v[147:148], v[183:184], v[147:148]
	v_fma_f64 v[183:184], v[98:99], s[28:29], -v[179:180]
	v_add_f64 v[88:89], v[151:152], v[88:89]
	v_mul_f64 v[151:152], v[116:117], s[16:17]
	v_add_f64 v[159:160], v[181:182], v[159:160]
	v_mul_f64 v[181:182], v[96:97], s[16:17]
	;; [unrolled: 2-line block ×3, first 2 shown]
	v_fma_f64 v[185:186], v[106:107], s[0:1], -v[183:184]
	v_add_f64 v[173:174], v[185:186], v[173:174]
	v_fma_f64 v[185:186], v[112:113], s[18:19], v[151:152]
	v_fma_f64 v[151:152], v[112:113], s[18:19], -v[151:152]
	v_add_f64 v[147:148], v[185:186], v[147:148]
	v_add_f64 v[88:89], v[151:152], v[88:89]
	v_fma_f64 v[151:152], v[84:85], s[10:11], v[155:156]
	v_fma_f64 v[185:186], v[94:95], s[18:19], -v[181:182]
	v_add_f64 v[151:152], v[151:152], v[4:5]
	v_mul_f64 v[4:5], v[114:115], s[46:47]
	v_add_f64 v[171:172], v[185:186], v[171:172]
	v_fma_f64 v[185:186], v[141:142], s[36:37], -v[167:168]
	v_fma_f64 v[155:156], v[86:87], s[24:25], v[4:5]
	v_fma_f64 v[4:5], v[86:87], s[24:25], -v[4:5]
	v_add_f64 v[173:174], v[185:186], v[173:174]
	v_add_f64 v[147:148], v[155:156], v[147:148]
	v_fma_f64 v[155:156], v[143:144], s[36:37], -v[165:166]
	v_add_f64 v[88:89], v[4:5], v[88:89]
	v_add_f64 v[20:21], v[155:156], v[20:21]
	v_fma_f64 v[155:156], v[98:99], s[28:29], v[179:180]
	v_add_f64 v[155:156], v[155:156], v[157:158]
	v_mul_f64 v[157:158], v[125:126], s[22:23]
	v_fma_f64 v[165:166], v[123:124], s[20:21], v[157:158]
	v_fma_f64 v[4:5], v[123:124], s[20:21], -v[157:158]
	v_add_f64 v[159:160], v[165:166], v[159:160]
	v_mul_f64 v[165:166], v[92:93], s[46:47]
	v_add_f64 v[4:5], v[4:5], v[20:21]
	v_fma_f64 v[20:21], v[94:95], s[18:19], v[181:182]
	v_fma_f64 v[179:180], v[84:85], s[24:25], -v[165:166]
	v_add_f64 v[20:21], v[20:21], v[155:156]
	v_mul_f64 v[155:156], v[116:117], s[44:45]
	v_add_f64 v[171:172], v[179:180], v[171:172]
	v_fma_f64 v[179:180], v[106:107], s[0:1], v[183:184]
	v_fma_f64 v[157:158], v[112:113], s[10:11], v[155:156]
	v_fma_f64 v[155:156], v[112:113], s[10:11], -v[155:156]
	v_add_f64 v[149:150], v[179:180], v[149:150]
	v_mul_f64 v[179:180], v[139:140], s[22:23]
	v_add_f64 v[157:158], v[157:158], v[159:160]
	v_fma_f64 v[159:160], v[141:142], s[36:37], v[167:168]
	v_add_f64 v[4:5], v[155:156], v[4:5]
	v_fma_f64 v[183:184], v[98:99], s[20:21], -v[179:180]
	v_fma_f64 v[155:156], v[98:99], s[20:21], v[179:180]
	v_add_f64 v[149:150], v[159:160], v[149:150]
	v_mul_f64 v[159:160], v[96:97], s[44:45]
	v_add_f64 v[173:174], v[183:184], v[173:174]
	v_add_f64 v[149:150], v[155:156], v[149:150]
	v_fma_f64 v[167:168], v[94:95], s[10:11], -v[159:160]
	v_mul_f64 v[155:156], v[121:122], s[40:41]
	v_mul_f64 v[121:122], v[121:122], s[50:51]
	v_add_f64 v[167:168], v[167:168], v[173:174]
	v_fma_f64 v[173:174], v[133:134], s[34:35], -v[155:156]
	v_fma_f64 v[155:156], v[133:134], s[34:35], v[155:156]
	v_add_f64 v[161:162], v[173:174], v[161:162]
	v_fma_f64 v[173:174], v[133:134], s[20:21], -v[121:122]
	v_fma_f64 v[121:122], v[133:134], s[20:21], v[121:122]
	v_mul_f64 v[133:134], v[118:119], s[40:41]
	v_add_f64 v[22:23], v[155:156], v[22:23]
	v_mul_f64 v[155:156], v[129:130], s[26:27]
	v_mul_f64 v[129:130], v[129:130], s[52:53]
	v_mul_f64 v[118:119], v[118:119], s[50:51]
	v_add_f64 v[66:67], v[121:122], v[66:67]
	v_fma_f64 v[179:180], v[131:132], s[34:35], v[133:134]
	v_fma_f64 v[133:134], v[131:132], s[34:35], -v[133:134]
	v_mul_f64 v[121:122], v[127:128], s[26:27]
	v_mul_f64 v[127:128], v[127:128], s[52:53]
	v_fma_f64 v[181:182], v[131:132], s[20:21], v[118:119]
	v_fma_f64 v[118:119], v[131:132], s[20:21], -v[118:119]
	v_add_f64 v[131:132], v[173:174], v[163:164]
	v_add_f64 v[173:174], v[179:180], v[177:178]
	;; [unrolled: 1-line block ×3, first 2 shown]
	v_fma_f64 v[169:170], v[137:138], s[24:25], -v[155:156]
	v_fma_f64 v[155:156], v[137:138], s[24:25], v[155:156]
	v_add_f64 v[163:164], v[181:182], v[175:176]
	v_fma_f64 v[175:176], v[106:107], s[28:29], v[127:128]
	v_add_f64 v[64:65], v[118:119], v[64:65]
	v_add_f64 v[161:162], v[169:170], v[161:162]
	v_fma_f64 v[169:170], v[137:138], s[28:29], -v[129:130]
	v_fma_f64 v[129:130], v[137:138], s[28:29], v[129:130]
	v_fma_f64 v[137:138], v[106:107], s[24:25], v[121:122]
	v_fma_f64 v[121:122], v[106:107], s[24:25], -v[121:122]
	v_fma_f64 v[106:107], v[106:107], s[28:29], -v[127:128]
	v_add_f64 v[22:23], v[155:156], v[22:23]
	v_add_f64 v[127:128], v[175:176], v[163:164]
	;; [unrolled: 1-line block ×4, first 2 shown]
	v_mul_f64 v[129:130], v[104:105], s[2:3]
	v_add_f64 v[121:122], v[121:122], v[133:134]
	v_mul_f64 v[133:134], v[135:136], s[2:3]
	v_mul_f64 v[135:136], v[135:136], s[40:41]
	v_add_f64 v[131:132], v[137:138], v[173:174]
	v_mul_f64 v[104:105], v[104:105], s[40:41]
	v_add_f64 v[64:65], v[106:107], v[64:65]
	v_fma_f64 v[137:138], v[143:144], s[0:1], -v[133:134]
	v_fma_f64 v[155:156], v[143:144], s[34:35], -v[135:136]
	v_fma_f64 v[133:134], v[143:144], s[0:1], v[133:134]
	v_fma_f64 v[135:136], v[143:144], s[34:35], v[135:136]
	;; [unrolled: 1-line block ×3, first 2 shown]
	v_fma_f64 v[129:130], v[141:142], s[0:1], -v[129:130]
	v_add_f64 v[137:138], v[137:138], v[161:162]
	v_add_f64 v[106:107], v[155:156], v[118:119]
	v_mul_f64 v[118:119], v[125:126], s[54:55]
	v_fma_f64 v[161:162], v[141:142], s[34:35], v[104:105]
	v_fma_f64 v[104:105], v[141:142], s[34:35], -v[104:105]
	v_mul_f64 v[125:126], v[125:126], s[38:39]
	v_add_f64 v[131:132], v[143:144], v[131:132]
	v_mul_f64 v[143:144], v[139:140], s[38:39]
	v_mul_f64 v[139:140], v[139:140], s[54:55]
	v_add_f64 v[22:23], v[133:134], v[22:23]
	v_mul_f64 v[133:134], v[116:117], s[48:49]
	v_add_f64 v[121:122], v[129:130], v[121:122]
	v_add_f64 v[66:67], v[135:136], v[66:67]
	v_mul_f64 v[116:117], v[116:117], s[26:27]
	v_fma_f64 v[141:142], v[123:124], s[18:19], -v[118:119]
	v_add_f64 v[127:128], v[161:162], v[127:128]
	v_fma_f64 v[118:119], v[123:124], s[18:19], v[118:119]
	v_fma_f64 v[129:130], v[123:124], s[36:37], -v[125:126]
	v_fma_f64 v[123:124], v[123:124], s[36:37], v[125:126]
	v_fma_f64 v[125:126], v[98:99], s[36:37], v[143:144]
	;; [unrolled: 1-line block ×3, first 2 shown]
	v_fma_f64 v[139:140], v[98:99], s[18:19], -v[139:140]
	v_fma_f64 v[98:99], v[98:99], s[36:37], -v[143:144]
	v_mul_f64 v[143:144], v[96:97], s[26:27]
	v_mul_f64 v[96:97], v[96:97], s[48:49]
	v_add_f64 v[64:65], v[104:105], v[64:65]
	v_mul_f64 v[104:105], v[114:115], s[40:41]
	v_add_f64 v[137:138], v[141:142], v[137:138]
	v_fma_f64 v[141:142], v[112:113], s[36:37], -v[133:134]
	v_add_f64 v[22:23], v[118:119], v[22:23]
	v_add_f64 v[106:107], v[129:130], v[106:107]
	v_fma_f64 v[133:134], v[112:113], s[36:37], v[133:134]
	v_add_f64 v[125:126], v[125:126], v[127:128]
	v_add_f64 v[127:128], v[135:136], v[131:132]
	;; [unrolled: 1-line block ×3, first 2 shown]
	v_fma_f64 v[121:122], v[112:113], s[24:25], -v[116:117]
	v_fma_f64 v[139:140], v[94:95], s[10:11], v[159:160]
	v_fma_f64 v[112:113], v[112:113], s[24:25], v[116:117]
	v_add_f64 v[66:67], v[123:124], v[66:67]
	v_mul_f64 v[116:117], v[92:93], s[16:17]
	v_mul_f64 v[123:124], v[92:93], s[30:31]
	;; [unrolled: 1-line block ×3, first 2 shown]
	v_add_f64 v[64:65], v[98:99], v[64:65]
	v_mul_f64 v[129:130], v[114:115], s[30:31]
	v_fma_f64 v[135:136], v[94:95], s[24:25], v[143:144]
	v_mul_f64 v[114:115], v[114:115], s[16:17]
	v_mul_f64 v[159:160], v[102:103], s[8:9]
	v_add_f64 v[131:132], v[141:142], v[137:138]
	v_fma_f64 v[137:138], v[94:95], s[36:37], v[96:97]
	v_fma_f64 v[141:142], v[86:87], s[34:35], -v[104:105]
	v_fma_f64 v[104:105], v[86:87], s[34:35], v[104:105]
	v_fma_f64 v[96:97], v[94:95], s[36:37], -v[96:97]
	v_fma_f64 v[94:95], v[94:95], s[24:25], -v[143:144]
	v_mul_f64 v[143:144], v[110:111], s[16:17]
	v_add_f64 v[98:99], v[121:122], v[106:107]
	v_add_f64 v[22:23], v[133:134], v[22:23]
	;; [unrolled: 1-line block ×3, first 2 shown]
	v_fma_f64 v[133:134], v[84:85], s[18:19], v[116:117]
	v_mul_f64 v[112:113], v[102:103], s[22:23]
	v_fma_f64 v[155:156], v[86:87], s[28:29], -v[129:130]
	v_add_f64 v[106:107], v[135:136], v[125:126]
	v_mul_f64 v[125:126], v[110:111], s[26:27]
	v_fma_f64 v[135:136], v[86:87], s[18:19], -v[114:115]
	v_fma_f64 v[129:130], v[86:87], s[28:29], v[129:130]
	v_fma_f64 v[86:87], v[86:87], s[18:19], v[114:115]
	v_mul_f64 v[114:115], v[110:111], s[22:23]
	v_fma_f64 v[163:164], v[100:101], s[10:11], v[159:160]
	v_add_f64 v[121:122], v[137:138], v[127:128]
	v_add_f64 v[127:128], v[139:140], v[149:150]
	v_fma_f64 v[139:140], v[84:85], s[34:35], v[92:93]
	v_fma_f64 v[92:93], v[84:85], s[34:35], -v[92:93]
	v_add_f64 v[104:105], v[104:105], v[157:158]
	v_add_f64 v[137:138], v[141:142], v[4:5]
	v_fma_f64 v[141:142], v[84:85], s[24:25], v[165:166]
	v_mul_f64 v[149:150], v[110:111], s[8:9]
	v_mul_f64 v[110:111], v[110:111], s[2:3]
	v_add_f64 v[96:97], v[96:97], v[118:119]
	v_fma_f64 v[118:119], v[84:85], s[28:29], v[123:124]
	v_mul_f64 v[4:5], v[102:103], s[26:27]
	v_fma_f64 v[123:124], v[84:85], s[28:29], -v[123:124]
	v_fma_f64 v[84:85], v[84:85], s[18:19], -v[116:117]
	v_add_f64 v[131:132], v[155:156], v[131:132]
	v_mul_f64 v[155:156], v[102:103], s[2:3]
	v_mul_f64 v[102:103], v[102:103], s[16:17]
	v_add_f64 v[64:65], v[94:95], v[64:65]
	v_add_f64 v[94:95], v[135:136], v[98:99]
	v_fma_f64 v[98:99], v[108:109], s[24:25], v[125:126]
	v_fma_f64 v[116:117], v[108:109], s[24:25], -v[125:126]
	v_add_f64 v[106:107], v[133:134], v[106:107]
	v_fma_f64 v[133:134], v[108:109], s[20:21], v[114:115]
	v_fma_f64 v[114:115], v[108:109], s[20:21], -v[114:115]
	v_fma_f64 v[135:136], v[108:109], s[18:19], -v[143:144]
	v_add_f64 v[157:158], v[92:93], v[167:168]
	v_add_f64 v[92:93], v[10:11], v[0:1]
	s_clause 0x1
	buffer_load_dword v0, off, s[60:63], 0
	buffer_load_dword v1, off, s[60:63], 0 offset:8
	v_add_f64 v[20:21], v[141:142], v[20:21]
	v_fma_f64 v[141:142], v[108:109], s[0:1], -v[110:111]
	v_fma_f64 v[167:168], v[100:101], s[20:21], v[112:113]
	v_add_f64 v[118:119], v[118:119], v[121:122]
	v_add_f64 v[121:122], v[139:140], v[127:128]
	v_fma_f64 v[139:140], v[108:109], s[10:11], -v[149:150]
	v_fma_f64 v[127:128], v[100:101], s[24:25], v[4:5]
	v_fma_f64 v[125:126], v[100:101], s[24:25], -v[4:5]
	v_fma_f64 v[161:162], v[100:101], s[0:1], v[155:156]
	v_fma_f64 v[165:166], v[100:101], s[18:19], v[102:103]
	v_fma_f64 v[112:113], v[100:101], s[20:21], -v[112:113]
	v_fma_f64 v[143:144], v[108:109], s[18:19], v[143:144]
	v_fma_f64 v[169:170], v[100:101], s[18:19], -v[102:103]
	v_add_f64 v[129:130], v[129:130], v[22:23]
	v_add_f64 v[123:124], v[123:124], v[96:97]
	v_fma_f64 v[149:150], v[108:109], s[10:11], v[149:150]
	v_fma_f64 v[159:160], v[100:101], s[10:11], -v[159:160]
	v_fma_f64 v[108:109], v[108:109], s[0:1], v[110:111]
	v_add_f64 v[110:111], v[86:87], v[66:67]
	v_fma_f64 v[155:156], v[100:101], s[0:1], -v[155:156]
	v_add_f64 v[4:5], v[98:99], v[8:9]
	v_add_f64 v[8:9], v[116:117], v[90:91]
	;; [unrolled: 1-line block ×22, first 2 shown]
	s_waitcnt vmcnt(1)
	v_mul_lo_u16 v0, v0, 17
	v_and_b32_e32 v0, 0xffff, v0
	s_waitcnt vmcnt(0)
	v_lshl_add_u32 v0, v0, 4, v1
	ds_write_b128 v0, v[92:95]
	ds_write_b128 v0, v[88:91] offset:16
	ds_write_b128 v0, v[84:87] offset:32
	;; [unrolled: 1-line block ×16, first 2 shown]
.LBB0_13:
	s_or_b32 exec_lo, exec_lo, s33
	s_waitcnt lgkmcnt(0)
	s_barrier
	buffer_gl0_inv
	ds_read_b128 v[4:7], v154 offset:272
	ds_read_b128 v[0:3], v154
	ds_read_b128 v[8:11], v154 offset:544
	ds_read_b128 v[12:15], v154 offset:816
	;; [unrolled: 1-line block ×9, first 2 shown]
	s_mov_b32 s2, 0xf8bb580b
	s_mov_b32 s8, 0x8764f0ba
	;; [unrolled: 1-line block ×9, first 2 shown]
	s_waitcnt lgkmcnt(10)
	v_mul_f64 v[84:85], v[26:27], v[6:7]
	v_mul_f64 v[26:27], v[26:27], v[4:5]
	s_waitcnt lgkmcnt(8)
	v_mul_f64 v[88:89], v[62:63], v[10:11]
	v_mul_f64 v[62:63], v[62:63], v[8:9]
	;; [unrolled: 3-line block ×3, first 2 shown]
	s_mov_b32 s22, 0x640f44db
	s_waitcnt lgkmcnt(3)
	v_mul_f64 v[94:95], v[38:39], v[70:71]
	s_waitcnt lgkmcnt(2)
	v_mul_f64 v[90:91], v[50:51], v[74:75]
	v_mul_f64 v[50:51], v[50:51], v[72:73]
	s_waitcnt lgkmcnt(0)
	v_mul_f64 v[86:87], v[46:47], v[80:81]
	v_mul_f64 v[38:39], v[38:39], v[68:69]
	s_mov_b32 s21, 0xbfefac9e
	s_mov_b32 s23, 0xbfc2375f
	;; [unrolled: 1-line block ×10, first 2 shown]
	v_fma_f64 v[84:85], v[24:25], v[4:5], v[84:85]
	v_fma_f64 v[24:25], v[24:25], v[6:7], -v[26:27]
	v_mul_f64 v[6:7], v[46:47], v[82:83]
	v_mul_f64 v[26:27], v[58:59], v[78:79]
	;; [unrolled: 1-line block ×4, first 2 shown]
	v_fma_f64 v[8:9], v[60:61], v[8:9], v[88:89]
	v_fma_f64 v[10:11], v[60:61], v[10:11], -v[62:63]
	v_mul_f64 v[54:55], v[54:55], v[12:13]
	v_fma_f64 v[18:19], v[40:41], v[18:19], -v[42:43]
	v_fma_f64 v[4:5], v[44:45], v[82:83], -v[86:87]
	v_mul_f64 v[82:83], v[34:35], v[22:23]
	v_fma_f64 v[16:17], v[40:41], v[16:17], v[92:93]
	v_mul_f64 v[34:35], v[34:35], v[20:21]
	v_mul_f64 v[86:87], v[30:31], v[66:67]
	;; [unrolled: 1-line block ×3, first 2 shown]
	v_fma_f64 v[40:41], v[36:37], v[68:69], v[94:95]
	v_fma_f64 v[36:37], v[36:37], v[70:71], -v[38:39]
	s_mov_b32 s37, 0xbfeeb42a
	s_mov_b32 s0, s2
	;; [unrolled: 1-line block ×4, first 2 shown]
	v_add_f64 v[60:61], v[0:1], v[84:85]
	v_add_f64 v[62:63], v[2:3], v[24:25]
	v_fma_f64 v[6:7], v[44:45], v[80:81], v[6:7]
	v_fma_f64 v[26:27], v[56:57], v[76:77], v[26:27]
	v_fma_f64 v[44:45], v[56:57], v[78:79], -v[46:47]
	v_fma_f64 v[12:13], v[52:53], v[12:13], v[58:59]
	v_fma_f64 v[46:47], v[48:49], v[72:73], v[90:91]
	v_fma_f64 v[48:49], v[48:49], v[74:75], -v[50:51]
	v_fma_f64 v[14:15], v[52:53], v[14:15], -v[54:55]
	s_mov_b32 s27, 0x3fefac9e
	v_add_f64 v[38:39], v[24:25], -v[4:5]
	v_add_f64 v[24:25], v[24:25], v[4:5]
	v_fma_f64 v[20:21], v[32:33], v[20:21], v[82:83]
	v_fma_f64 v[22:23], v[32:33], v[22:23], -v[34:35]
	v_fma_f64 v[32:33], v[28:29], v[64:65], v[86:87]
	v_fma_f64 v[28:29], v[28:29], v[66:67], -v[30:31]
	s_mov_b32 s39, 0x3fd207e7
	s_mov_b32 s26, s20
	;; [unrolled: 1-line block ×5, first 2 shown]
	v_add_f64 v[66:67], v[18:19], v[36:37]
	v_add_f64 v[42:43], v[60:61], v[8:9]
	;; [unrolled: 1-line block ×4, first 2 shown]
	v_add_f64 v[34:35], v[84:85], -v[6:7]
	v_add_f64 v[54:55], v[10:11], -v[44:45]
	v_add_f64 v[10:11], v[10:11], v[44:45]
	v_add_f64 v[56:57], v[12:13], v[46:47]
	v_add_f64 v[60:61], v[12:13], -v[46:47]
	v_add_f64 v[58:59], v[14:15], v[48:49]
	v_add_f64 v[62:63], v[14:15], -v[48:49]
	v_mul_f64 v[70:71], v[38:39], s[2:3]
	v_mul_f64 v[72:73], v[24:25], s[8:9]
	v_mul_f64 v[74:75], v[38:39], s[10:11]
	v_mul_f64 v[76:77], v[24:25], s[18:19]
	v_add_f64 v[52:53], v[8:9], v[26:27]
	v_add_f64 v[8:9], v[8:9], -v[26:27]
	v_mul_f64 v[78:79], v[38:39], s[24:25]
	v_mul_f64 v[80:81], v[24:25], s[28:29]
	v_add_f64 v[68:69], v[18:19], -v[36:37]
	v_add_f64 v[64:65], v[16:17], v[40:41]
	v_add_f64 v[12:13], v[42:43], v[12:13]
	;; [unrolled: 1-line block ×3, first 2 shown]
	v_mul_f64 v[42:43], v[38:39], s[20:21]
	v_mul_f64 v[50:51], v[24:25], s[22:23]
	;; [unrolled: 1-line block ×8, first 2 shown]
	v_fma_f64 v[112:113], v[30:31], s[8:9], v[70:71]
	v_fma_f64 v[114:115], v[34:35], s[0:1], v[72:73]
	v_fma_f64 v[70:71], v[30:31], s[8:9], -v[70:71]
	v_fma_f64 v[72:73], v[34:35], s[2:3], v[72:73]
	v_fma_f64 v[116:117], v[30:31], s[18:19], v[74:75]
	;; [unrolled: 1-line block ×3, first 2 shown]
	v_mul_f64 v[92:93], v[10:11], s[36:37]
	v_mul_f64 v[86:87], v[54:55], s[24:25]
	;; [unrolled: 1-line block ×6, first 2 shown]
	v_add_f64 v[12:13], v[12:13], v[16:17]
	v_add_f64 v[14:15], v[14:15], v[18:19]
	v_fma_f64 v[121:122], v[30:31], s[22:23], v[42:43]
	v_fma_f64 v[123:124], v[34:35], s[26:27], v[50:51]
	v_fma_f64 v[42:43], v[30:31], s[22:23], -v[42:43]
	v_fma_f64 v[50:51], v[34:35], s[20:21], v[50:51]
	v_mul_f64 v[98:99], v[62:63], s[20:21]
	v_mul_f64 v[100:101], v[58:59], s[22:23]
	v_fma_f64 v[74:75], v[30:31], s[18:19], -v[74:75]
	v_fma_f64 v[76:77], v[34:35], s[10:11], v[76:77]
	v_fma_f64 v[125:126], v[30:31], s[28:29], v[78:79]
	v_fma_f64 v[127:128], v[34:35], s[34:35], v[80:81]
	v_fma_f64 v[78:79], v[30:31], s[28:29], -v[78:79]
	v_fma_f64 v[80:81], v[34:35], s[24:25], v[80:81]
	v_fma_f64 v[129:130], v[30:31], s[36:37], v[38:39]
	v_fma_f64 v[131:132], v[34:35], s[38:39], v[24:25]
	;; [unrolled: 4-line block ×3, first 2 shown]
	v_add_f64 v[112:113], v[0:1], v[112:113]
	v_add_f64 v[114:115], v[2:3], v[114:115]
	;; [unrolled: 1-line block ×4, first 2 shown]
	v_mul_f64 v[104:105], v[58:59], s[36:37]
	v_fma_f64 v[135:136], v[8:9], s[34:35], v[88:89]
	v_mul_f64 v[18:19], v[62:63], s[16:17]
	v_mul_f64 v[106:107], v[58:59], s[18:19]
	v_fma_f64 v[137:138], v[52:53], s[36:37], v[90:91]
	v_fma_f64 v[139:140], v[8:9], s[30:31], v[92:93]
	v_fma_f64 v[90:91], v[52:53], s[36:37], -v[90:91]
	v_fma_f64 v[92:93], v[8:9], s[38:39], v[92:93]
	v_add_f64 v[42:43], v[0:1], v[42:43]
	v_add_f64 v[50:51], v[2:3], v[50:51]
	v_mul_f64 v[108:109], v[62:63], s[2:3]
	v_fma_f64 v[82:83], v[52:53], s[18:19], -v[82:83]
	v_fma_f64 v[84:85], v[8:9], s[10:11], v[84:85]
	v_fma_f64 v[133:134], v[52:53], s[28:29], v[86:87]
	v_fma_f64 v[86:87], v[52:53], s[28:29], -v[86:87]
	v_fma_f64 v[88:89], v[8:9], s[24:25], v[88:89]
	v_fma_f64 v[141:142], v[52:53], s[22:23], v[94:95]
	;; [unrolled: 1-line block ×3, first 2 shown]
	v_fma_f64 v[94:95], v[52:53], s[22:23], -v[94:95]
	v_fma_f64 v[96:97], v[8:9], s[26:27], v[96:97]
	v_add_f64 v[12:13], v[12:13], v[32:33]
	v_add_f64 v[14:15], v[14:15], v[28:29]
	v_fma_f64 v[145:146], v[52:53], s[8:9], v[54:55]
	v_fma_f64 v[147:148], v[8:9], s[2:3], v[10:11]
	v_fma_f64 v[52:53], v[52:53], s[8:9], -v[54:55]
	v_fma_f64 v[8:9], v[8:9], s[0:1], v[10:11]
	v_fma_f64 v[10:11], v[56:57], s[22:23], v[98:99]
	v_fma_f64 v[54:55], v[60:61], s[26:27], v[100:101]
	v_add_f64 v[74:75], v[0:1], v[74:75]
	v_add_f64 v[76:77], v[2:3], v[76:77]
	;; [unrolled: 1-line block ×4, first 2 shown]
	v_mul_f64 v[102:103], v[62:63], s[38:39]
	v_mul_f64 v[110:111], v[58:59], s[8:9]
	v_fma_f64 v[151:152], v[60:61], s[30:31], v[104:105]
	v_mul_f64 v[62:63], v[62:63], s[24:25]
	v_fma_f64 v[154:155], v[56:57], s[18:19], v[18:19]
	v_fma_f64 v[156:157], v[60:61], s[10:11], v[106:107]
	v_fma_f64 v[18:19], v[56:57], s[18:19], -v[18:19]
	v_fma_f64 v[106:107], v[60:61], s[16:17], v[106:107]
	v_add_f64 v[42:43], v[90:91], v[42:43]
	v_add_f64 v[50:51], v[92:93], v[50:51]
	v_add_f64 v[12:13], v[12:13], v[40:41]
	v_add_f64 v[14:15], v[14:15], v[36:37]
	v_add_f64 v[36:37], v[0:1], v[70:71]
	v_add_f64 v[70:71], v[2:3], v[72:73]
	v_add_f64 v[72:73], v[0:1], v[116:117]
	v_add_f64 v[116:117], v[2:3], v[118:119]
	v_add_f64 v[118:119], v[0:1], v[121:122]
	v_add_f64 v[121:122], v[2:3], v[123:124]
	v_add_f64 v[123:124], v[0:1], v[125:126]
	v_add_f64 v[125:126], v[2:3], v[127:128]
	v_add_f64 v[127:128], v[0:1], v[129:130]
	v_add_f64 v[129:130], v[2:3], v[131:132]
	v_add_f64 v[0:1], v[0:1], v[30:31]
	v_add_f64 v[2:3], v[2:3], v[24:25]
	v_add_f64 v[24:25], v[34:35], v[112:113]
	v_add_f64 v[30:31], v[38:39], v[114:115]
	v_mul_f64 v[58:59], v[58:59], s[28:29]
	v_fma_f64 v[100:101], v[60:61], s[20:21], v[100:101]
	v_add_f64 v[16:17], v[16:17], -v[40:41]
	v_fma_f64 v[98:99], v[56:57], s[22:23], -v[98:99]
	v_fma_f64 v[149:150], v[56:57], s[36:37], v[102:103]
	v_fma_f64 v[40:41], v[60:61], s[0:1], v[110:111]
	v_add_f64 v[12:13], v[12:13], v[46:47]
	v_add_f64 v[14:15], v[14:15], v[48:49]
	;; [unrolled: 1-line block ×7, first 2 shown]
	v_fma_f64 v[102:103], v[56:57], s[36:37], -v[102:103]
	v_add_f64 v[76:77], v[141:142], v[123:124]
	v_add_f64 v[82:83], v[143:144], v[125:126]
	;; [unrolled: 1-line block ×3, first 2 shown]
	v_fma_f64 v[104:105], v[60:61], s[38:39], v[104:105]
	v_add_f64 v[0:1], v[52:53], v[0:1]
	v_add_f64 v[2:3], v[8:9], v[2:3]
	;; [unrolled: 1-line block ×4, first 2 shown]
	v_fma_f64 v[30:31], v[56:57], s[8:9], v[108:109]
	v_mul_f64 v[24:25], v[68:69], s[24:25]
	v_mul_f64 v[52:53], v[66:67], s[22:23]
	v_add_f64 v[78:79], v[94:95], v[78:79]
	v_add_f64 v[80:81], v[96:97], v[80:81]
	v_fma_f64 v[54:55], v[56:57], s[8:9], -v[108:109]
	v_add_f64 v[12:13], v[12:13], v[26:27]
	v_mul_f64 v[26:27], v[66:67], s[28:29]
	v_add_f64 v[14:15], v[14:15], v[44:45]
	v_fma_f64 v[88:89], v[60:61], s[2:3], v[110:111]
	v_add_f64 v[18:19], v[18:19], v[42:43]
	v_add_f64 v[44:45], v[151:152], v[46:47]
	v_mul_f64 v[46:47], v[68:69], s[26:27]
	v_add_f64 v[42:43], v[106:107], v[50:51]
	v_fma_f64 v[50:51], v[56:57], s[28:29], -v[62:63]
	v_add_f64 v[72:73], v[137:138], v[118:119]
	v_fma_f64 v[90:91], v[56:57], s[28:29], v[62:63]
	v_mul_f64 v[62:63], v[68:69], s[2:3]
	v_add_f64 v[74:75], v[139:140], v[121:122]
	v_add_f64 v[36:37], v[100:101], v[36:37]
	v_fma_f64 v[92:93], v[60:61], s[34:35], v[58:59]
	v_fma_f64 v[56:57], v[60:61], s[24:25], v[58:59]
	v_add_f64 v[30:31], v[30:31], v[76:77]
	v_mul_f64 v[76:77], v[66:67], s[8:9]
	v_add_f64 v[34:35], v[98:99], v[34:35]
	v_add_f64 v[38:39], v[149:150], v[38:39]
	v_fma_f64 v[58:59], v[64:65], s[28:29], v[24:25]
	v_add_f64 v[40:41], v[40:41], v[82:83]
	v_fma_f64 v[24:25], v[64:65], s[28:29], -v[24:25]
	v_fma_f64 v[60:61], v[16:17], s[34:35], v[26:27]
	v_fma_f64 v[26:27], v[16:17], s[24:25], v[26:27]
	v_add_f64 v[48:49], v[102:103], v[48:49]
	v_fma_f64 v[94:95], v[16:17], s[20:21], v[52:53]
	v_add_f64 v[70:71], v[104:105], v[70:71]
	v_fma_f64 v[82:83], v[64:65], s[22:23], v[46:47]
	v_fma_f64 v[46:47], v[64:65], s[22:23], -v[46:47]
	v_add_f64 v[54:55], v[54:55], v[78:79]
	v_fma_f64 v[52:53], v[16:17], s[26:27], v[52:53]
	v_add_f64 v[78:79], v[88:89], v[80:81]
	v_mul_f64 v[80:81], v[68:69], s[30:31]
	v_mul_f64 v[88:89], v[66:67], s[36:37]
	;; [unrolled: 1-line block ×4, first 2 shown]
	v_add_f64 v[0:1], v[50:51], v[0:1]
	v_add_f64 v[50:51], v[22:23], -v[28:29]
	v_add_f64 v[22:23], v[22:23], v[28:29]
	v_add_f64 v[84:85], v[145:146], v[127:128]
	v_add_f64 v[86:87], v[147:148], v[129:130]
	v_add_f64 v[72:73], v[154:155], v[72:73]
	v_fma_f64 v[28:29], v[64:65], s[8:9], v[62:63]
	v_add_f64 v[74:75], v[156:157], v[74:75]
	v_add_f64 v[2:3], v[56:57], v[2:3]
	;; [unrolled: 1-line block ×3, first 2 shown]
	v_fma_f64 v[26:27], v[16:17], s[0:1], v[76:77]
	v_add_f64 v[24:25], v[24:25], v[34:35]
	v_add_f64 v[36:37], v[94:95], v[44:45]
	;; [unrolled: 1-line block ×3, first 2 shown]
	v_fma_f64 v[38:39], v[64:65], s[8:9], -v[62:63]
	v_add_f64 v[44:45], v[46:47], v[48:49]
	v_fma_f64 v[48:49], v[16:17], s[2:3], v[76:77]
	v_add_f64 v[8:9], v[58:59], v[8:9]
	v_add_f64 v[10:11], v[60:61], v[10:11]
	;; [unrolled: 1-line block ×3, first 2 shown]
	v_fma_f64 v[52:53], v[64:65], s[36:37], v[80:81]
	v_fma_f64 v[58:59], v[16:17], s[38:39], v[88:89]
	v_fma_f64 v[60:61], v[64:65], s[36:37], -v[80:81]
	v_fma_f64 v[62:63], v[16:17], s[30:31], v[88:89]
	v_fma_f64 v[70:71], v[64:65], s[18:19], v[68:69]
	;; [unrolled: 1-line block ×3, first 2 shown]
	v_fma_f64 v[64:65], v[64:65], s[18:19], -v[68:69]
	v_fma_f64 v[16:17], v[16:17], s[16:17], v[66:67]
	v_add_f64 v[66:67], v[20:21], v[32:33]
	v_add_f64 v[20:21], v[20:21], -v[32:33]
	v_mul_f64 v[32:33], v[50:51], s[30:31]
	v_mul_f64 v[68:69], v[22:23], s[36:37]
	v_add_f64 v[84:85], v[90:91], v[84:85]
	v_add_f64 v[86:87], v[92:93], v[86:87]
	;; [unrolled: 1-line block ×3, first 2 shown]
	v_mul_f64 v[72:73], v[50:51], s[0:1]
	v_mul_f64 v[80:81], v[22:23], s[8:9]
	v_add_f64 v[26:27], v[26:27], v[74:75]
	v_mul_f64 v[74:75], v[50:51], s[24:25]
	v_mul_f64 v[82:83], v[22:23], s[28:29]
	v_add_f64 v[18:19], v[38:39], v[18:19]
	;; [unrolled: 3-line block ×4, first 2 shown]
	v_add_f64 v[50:51], v[60:61], v[54:55]
	v_add_f64 v[52:53], v[62:63], v[78:79]
	;; [unrolled: 1-line block ×5, first 2 shown]
	v_fma_f64 v[16:17], v[66:67], s[36:37], v[32:33]
	v_fma_f64 v[64:65], v[20:21], s[38:39], v[68:69]
	v_add_f64 v[54:55], v[70:71], v[84:85]
	v_add_f64 v[58:59], v[76:77], v[86:87]
	v_fma_f64 v[32:33], v[66:67], s[36:37], -v[32:33]
	v_fma_f64 v[70:71], v[66:67], s[8:9], v[72:73]
	v_fma_f64 v[76:77], v[20:21], s[2:3], v[80:81]
	v_fma_f64 v[72:73], v[66:67], s[8:9], -v[72:73]
	v_fma_f64 v[78:79], v[66:67], s[28:29], v[74:75]
	v_fma_f64 v[84:85], v[20:21], s[34:35], v[82:83]
	;; [unrolled: 3-line block ×5, first 2 shown]
	v_fma_f64 v[82:83], v[20:21], s[24:25], v[82:83]
	v_fma_f64 v[80:81], v[20:21], s[0:1], v[80:81]
	;; [unrolled: 1-line block ×3, first 2 shown]
	v_add_f64 v[0:1], v[12:13], v[6:7]
	v_add_f64 v[2:3], v[14:15], v[4:5]
	v_add_f64 v[4:5], v[16:17], v[8:9]
	v_add_f64 v[6:7], v[64:65], v[10:11]
	v_add_f64 v[8:9], v[32:33], v[24:25]
	v_add_f64 v[12:13], v[70:71], v[34:35]
	v_add_f64 v[14:15], v[76:77], v[36:37]
	v_add_f64 v[16:17], v[72:73], v[44:45]
	v_add_f64 v[20:21], v[78:79], v[28:29]
	v_add_f64 v[22:23], v[84:85], v[26:27]
	v_add_f64 v[24:25], v[74:75], v[18:19]
	v_add_f64 v[28:29], v[86:87], v[30:31]
	v_add_f64 v[30:31], v[90:91], v[40:41]
	v_add_f64 v[32:33], v[38:39], v[50:51]
	v_add_f64 v[36:37], v[92:93], v[54:55]
	v_add_f64 v[38:39], v[94:95], v[58:59]
	v_add_f64 v[40:41], v[42:43], v[60:61]
	v_add_f64 v[42:43], v[66:67], v[62:63]
	v_add_f64 v[34:35], v[88:89], v[52:53]
	v_add_f64 v[26:27], v[82:83], v[48:49]
	v_add_f64 v[18:19], v[80:81], v[46:47]
	v_add_f64 v[10:11], v[68:69], v[56:57]
	ds_write_b128 v153, v[0:3]
	ds_write_b128 v153, v[4:7] offset:272
	ds_write_b128 v153, v[12:15] offset:544
	;; [unrolled: 1-line block ×10, first 2 shown]
	s_waitcnt lgkmcnt(0)
	s_barrier
	buffer_gl0_inv
	s_and_b32 exec_lo, exec_lo, vcc_lo
	s_cbranch_execz .LBB0_15
; %bb.14:
	global_load_dwordx4 v[0:3], v255, s[12:13]
	ds_read_b128 v[4:7], v153
	ds_read_b128 v[8:11], v153 offset:176
	buffer_load_dword v16, off, s[60:63], 0 ; 4-byte Folded Reload
	v_mad_u64_u32 v[14:15], null, s6, v120, 0
	s_mov_b32 s0, 0xb8d015e7
	s_mov_b32 s1, 0x3f75e75b
	s_mul_i32 s2, s5, 0xb0
	s_mul_hi_u32 s6, s4, 0xb0
	s_mul_i32 s3, s4, 0xb0
	s_add_i32 s2, s6, s2
	s_waitcnt vmcnt(1) lgkmcnt(1)
	v_mul_f64 v[12:13], v[6:7], v[2:3]
	v_mul_f64 v[2:3], v[4:5], v[2:3]
	v_fma_f64 v[4:5], v[4:5], v[0:1], v[12:13]
	v_fma_f64 v[0:1], v[0:1], v[6:7], -v[2:3]
	s_waitcnt vmcnt(0)
	v_mad_u64_u32 v[6:7], null, s4, v16, 0
	v_mov_b32_e32 v2, v15
	v_mov_b32_e32 v3, v7
	v_mad_u64_u32 v[12:13], null, s7, v120, v[2:3]
	v_mad_u64_u32 v[16:17], null, s5, v16, v[3:4]
	v_mov_b32_e32 v15, v12
	v_mul_f64 v[2:3], v[4:5], s[0:1]
	v_mul_f64 v[4:5], v[0:1], s[0:1]
	v_lshlrev_b64 v[0:1], 4, v[14:15]
	v_mov_b32_e32 v7, v16
	v_add_co_u32 v0, vcc_lo, s14, v0
	v_lshlrev_b64 v[6:7], 4, v[6:7]
	v_add_co_ci_u32_e32 v1, vcc_lo, s15, v1, vcc_lo
	v_add_co_u32 v6, vcc_lo, v0, v6
	v_add_co_ci_u32_e32 v7, vcc_lo, v1, v7, vcc_lo
	v_add_co_u32 v14, vcc_lo, v6, s3
	global_store_dwordx4 v[6:7], v[2:5], off
	global_load_dwordx4 v[2:5], v255, s[12:13] offset:176
	v_add_co_ci_u32_e32 v15, vcc_lo, s2, v7, vcc_lo
	s_waitcnt vmcnt(0) lgkmcnt(0)
	v_mul_f64 v[12:13], v[10:11], v[4:5]
	v_mul_f64 v[4:5], v[8:9], v[4:5]
	v_fma_f64 v[8:9], v[8:9], v[2:3], v[12:13]
	v_fma_f64 v[4:5], v[2:3], v[10:11], -v[4:5]
	v_mul_f64 v[2:3], v[8:9], s[0:1]
	v_mul_f64 v[4:5], v[4:5], s[0:1]
	global_store_dwordx4 v[14:15], v[2:5], off
	global_load_dwordx4 v[2:5], v255, s[12:13] offset:352
	ds_read_b128 v[6:9], v153 offset:352
	ds_read_b128 v[10:13], v153 offset:528
	s_waitcnt vmcnt(0) lgkmcnt(1)
	v_mul_f64 v[16:17], v[8:9], v[4:5]
	v_mul_f64 v[4:5], v[6:7], v[4:5]
	v_fma_f64 v[6:7], v[6:7], v[2:3], v[16:17]
	v_fma_f64 v[4:5], v[2:3], v[8:9], -v[4:5]
	v_mul_f64 v[2:3], v[6:7], s[0:1]
	v_mul_f64 v[4:5], v[4:5], s[0:1]
	v_add_co_u32 v6, vcc_lo, v14, s3
	v_add_co_ci_u32_e32 v7, vcc_lo, s2, v15, vcc_lo
	v_add_co_u32 v14, vcc_lo, v6, s3
	v_add_co_ci_u32_e32 v15, vcc_lo, s2, v7, vcc_lo
	global_store_dwordx4 v[6:7], v[2:5], off
	global_load_dwordx4 v[2:5], v255, s[12:13] offset:528
	s_waitcnt vmcnt(0) lgkmcnt(0)
	v_mul_f64 v[8:9], v[12:13], v[4:5]
	v_mul_f64 v[4:5], v[10:11], v[4:5]
	v_fma_f64 v[8:9], v[10:11], v[2:3], v[8:9]
	v_fma_f64 v[4:5], v[2:3], v[12:13], -v[4:5]
	v_mul_f64 v[2:3], v[8:9], s[0:1]
	v_mul_f64 v[4:5], v[4:5], s[0:1]
	global_store_dwordx4 v[14:15], v[2:5], off
	global_load_dwordx4 v[2:5], v255, s[12:13] offset:704
	ds_read_b128 v[6:9], v153 offset:704
	ds_read_b128 v[10:13], v153 offset:880
	s_waitcnt vmcnt(0) lgkmcnt(1)
	v_mul_f64 v[16:17], v[8:9], v[4:5]
	v_mul_f64 v[4:5], v[6:7], v[4:5]
	v_fma_f64 v[6:7], v[6:7], v[2:3], v[16:17]
	v_fma_f64 v[4:5], v[2:3], v[8:9], -v[4:5]
	v_mul_f64 v[2:3], v[6:7], s[0:1]
	v_mul_f64 v[4:5], v[4:5], s[0:1]
	v_add_co_u32 v6, vcc_lo, v14, s3
	v_add_co_ci_u32_e32 v7, vcc_lo, s2, v15, vcc_lo
	v_add_co_u32 v14, vcc_lo, v6, s3
	v_add_co_ci_u32_e32 v15, vcc_lo, s2, v7, vcc_lo
	global_store_dwordx4 v[6:7], v[2:5], off
	global_load_dwordx4 v[2:5], v255, s[12:13] offset:880
	;; [unrolled: 24-line block ×5, first 2 shown]
	s_waitcnt vmcnt(0) lgkmcnt(0)
	v_mul_f64 v[8:9], v[12:13], v[4:5]
	v_mul_f64 v[4:5], v[10:11], v[4:5]
	v_fma_f64 v[8:9], v[10:11], v[2:3], v[8:9]
	v_fma_f64 v[4:5], v[2:3], v[12:13], -v[4:5]
	v_mul_f64 v[2:3], v[8:9], s[0:1]
	v_mul_f64 v[4:5], v[4:5], s[0:1]
	v_add_co_u32 v8, s6, s12, v255
	v_add_co_ci_u32_e64 v9, null, s13, 0, s6
	v_add_co_u32 v16, vcc_lo, 0x800, v8
	v_add_co_ci_u32_e32 v17, vcc_lo, 0, v9, vcc_lo
	global_store_dwordx4 v[14:15], v[2:5], off
	global_load_dwordx4 v[2:5], v[16:17], off offset:64
	ds_read_b128 v[6:9], v153 offset:2112
	ds_read_b128 v[10:13], v153 offset:2288
	s_waitcnt vmcnt(0) lgkmcnt(1)
	v_mul_f64 v[18:19], v[8:9], v[4:5]
	v_mul_f64 v[4:5], v[6:7], v[4:5]
	v_fma_f64 v[6:7], v[6:7], v[2:3], v[18:19]
	v_fma_f64 v[4:5], v[2:3], v[8:9], -v[4:5]
	v_mul_f64 v[2:3], v[6:7], s[0:1]
	v_mul_f64 v[4:5], v[4:5], s[0:1]
	v_add_co_u32 v6, vcc_lo, v14, s3
	v_add_co_ci_u32_e32 v7, vcc_lo, s2, v15, vcc_lo
	v_add_co_u32 v14, vcc_lo, v6, s3
	v_add_co_ci_u32_e32 v15, vcc_lo, s2, v7, vcc_lo
	global_store_dwordx4 v[6:7], v[2:5], off
	global_load_dwordx4 v[2:5], v[16:17], off offset:240
	s_waitcnt vmcnt(0) lgkmcnt(0)
	v_mul_f64 v[8:9], v[12:13], v[4:5]
	v_mul_f64 v[4:5], v[10:11], v[4:5]
	v_fma_f64 v[8:9], v[10:11], v[2:3], v[8:9]
	v_fma_f64 v[4:5], v[2:3], v[12:13], -v[4:5]
	v_mul_f64 v[2:3], v[8:9], s[0:1]
	v_mul_f64 v[4:5], v[4:5], s[0:1]
	global_store_dwordx4 v[14:15], v[2:5], off
	global_load_dwordx4 v[2:5], v[16:17], off offset:416
	ds_read_b128 v[6:9], v153 offset:2464
	ds_read_b128 v[10:13], v153 offset:2640
	s_waitcnt vmcnt(0) lgkmcnt(1)
	v_mul_f64 v[18:19], v[8:9], v[4:5]
	v_mul_f64 v[4:5], v[6:7], v[4:5]
	v_fma_f64 v[6:7], v[6:7], v[2:3], v[18:19]
	v_fma_f64 v[4:5], v[2:3], v[8:9], -v[4:5]
	v_mul_f64 v[2:3], v[6:7], s[0:1]
	v_mul_f64 v[4:5], v[4:5], s[0:1]
	v_add_co_u32 v6, vcc_lo, v14, s3
	v_add_co_ci_u32_e32 v7, vcc_lo, s2, v15, vcc_lo
	global_store_dwordx4 v[6:7], v[2:5], off
	global_load_dwordx4 v[2:5], v[16:17], off offset:592
	v_add_co_u32 v6, vcc_lo, v6, s3
	v_add_co_ci_u32_e32 v7, vcc_lo, s2, v7, vcc_lo
	s_waitcnt vmcnt(0) lgkmcnt(0)
	v_mul_f64 v[8:9], v[12:13], v[4:5]
	v_mul_f64 v[4:5], v[10:11], v[4:5]
	v_fma_f64 v[8:9], v[10:11], v[2:3], v[8:9]
	v_fma_f64 v[4:5], v[2:3], v[12:13], -v[4:5]
	buffer_load_dword v12, off, s[60:63], 0 offset:12 ; 4-byte Folded Reload
	v_mul_f64 v[2:3], v[8:9], s[0:1]
	v_mul_f64 v[4:5], v[4:5], s[0:1]
	global_store_dwordx4 v[6:7], v[2:5], off
	s_waitcnt vmcnt(0)
	v_lshlrev_b32_e32 v8, 4, v12
	global_load_dwordx4 v[2:5], v8, s[12:13]
	ds_read_b128 v[6:9], v153 offset:2816
	s_waitcnt vmcnt(0) lgkmcnt(0)
	v_mul_f64 v[10:11], v[8:9], v[4:5]
	v_mul_f64 v[4:5], v[6:7], v[4:5]
	v_fma_f64 v[6:7], v[6:7], v[2:3], v[10:11]
	v_fma_f64 v[4:5], v[2:3], v[8:9], -v[4:5]
	v_mad_u64_u32 v[8:9], null, s4, v12, 0
	v_mov_b32_e32 v2, v9
	v_mad_u64_u32 v[9:10], null, s5, v12, v[2:3]
	v_mul_f64 v[2:3], v[6:7], s[0:1]
	v_mul_f64 v[4:5], v[4:5], s[0:1]
	v_lshlrev_b64 v[6:7], 4, v[8:9]
	v_add_co_u32 v0, vcc_lo, v0, v6
	v_add_co_ci_u32_e32 v1, vcc_lo, v1, v7, vcc_lo
	global_store_dwordx4 v[0:1], v[2:5], off
.LBB0_15:
	s_endpgm
	.section	.rodata,"a",@progbits
	.p2align	6, 0x0
	.amdhsa_kernel bluestein_single_back_len187_dim1_dp_op_CI_CI
		.amdhsa_group_segment_fixed_size 20944
		.amdhsa_private_segment_fixed_size 404
		.amdhsa_kernarg_size 104
		.amdhsa_user_sgpr_count 6
		.amdhsa_user_sgpr_private_segment_buffer 1
		.amdhsa_user_sgpr_dispatch_ptr 0
		.amdhsa_user_sgpr_queue_ptr 0
		.amdhsa_user_sgpr_kernarg_segment_ptr 1
		.amdhsa_user_sgpr_dispatch_id 0
		.amdhsa_user_sgpr_flat_scratch_init 0
		.amdhsa_user_sgpr_private_segment_size 0
		.amdhsa_wavefront_size32 1
		.amdhsa_uses_dynamic_stack 0
		.amdhsa_system_sgpr_private_segment_wavefront_offset 1
		.amdhsa_system_sgpr_workgroup_id_x 1
		.amdhsa_system_sgpr_workgroup_id_y 0
		.amdhsa_system_sgpr_workgroup_id_z 0
		.amdhsa_system_sgpr_workgroup_info 0
		.amdhsa_system_vgpr_workitem_id 0
		.amdhsa_next_free_vgpr 256
		.amdhsa_next_free_sgpr 64
		.amdhsa_reserve_vcc 1
		.amdhsa_reserve_flat_scratch 0
		.amdhsa_float_round_mode_32 0
		.amdhsa_float_round_mode_16_64 0
		.amdhsa_float_denorm_mode_32 3
		.amdhsa_float_denorm_mode_16_64 3
		.amdhsa_dx10_clamp 1
		.amdhsa_ieee_mode 1
		.amdhsa_fp16_overflow 0
		.amdhsa_workgroup_processor_mode 1
		.amdhsa_memory_ordered 1
		.amdhsa_forward_progress 0
		.amdhsa_shared_vgpr_count 0
		.amdhsa_exception_fp_ieee_invalid_op 0
		.amdhsa_exception_fp_denorm_src 0
		.amdhsa_exception_fp_ieee_div_zero 0
		.amdhsa_exception_fp_ieee_overflow 0
		.amdhsa_exception_fp_ieee_underflow 0
		.amdhsa_exception_fp_ieee_inexact 0
		.amdhsa_exception_int_div_zero 0
	.end_amdhsa_kernel
	.text
.Lfunc_end0:
	.size	bluestein_single_back_len187_dim1_dp_op_CI_CI, .Lfunc_end0-bluestein_single_back_len187_dim1_dp_op_CI_CI
                                        ; -- End function
	.section	.AMDGPU.csdata,"",@progbits
; Kernel info:
; codeLenInByte = 26264
; NumSgprs: 66
; NumVgprs: 256
; ScratchSize: 404
; MemoryBound: 0
; FloatMode: 240
; IeeeMode: 1
; LDSByteSize: 20944 bytes/workgroup (compile time only)
; SGPRBlocks: 8
; VGPRBlocks: 31
; NumSGPRsForWavesPerEU: 66
; NumVGPRsForWavesPerEU: 256
; Occupancy: 4
; WaveLimiterHint : 1
; COMPUTE_PGM_RSRC2:SCRATCH_EN: 1
; COMPUTE_PGM_RSRC2:USER_SGPR: 6
; COMPUTE_PGM_RSRC2:TRAP_HANDLER: 0
; COMPUTE_PGM_RSRC2:TGID_X_EN: 1
; COMPUTE_PGM_RSRC2:TGID_Y_EN: 0
; COMPUTE_PGM_RSRC2:TGID_Z_EN: 0
; COMPUTE_PGM_RSRC2:TIDIG_COMP_CNT: 0
	.text
	.p2alignl 6, 3214868480
	.fill 48, 4, 3214868480
	.type	__hip_cuid_f2f0ef6f9b998460,@object ; @__hip_cuid_f2f0ef6f9b998460
	.section	.bss,"aw",@nobits
	.globl	__hip_cuid_f2f0ef6f9b998460
__hip_cuid_f2f0ef6f9b998460:
	.byte	0                               ; 0x0
	.size	__hip_cuid_f2f0ef6f9b998460, 1

	.ident	"AMD clang version 19.0.0git (https://github.com/RadeonOpenCompute/llvm-project roc-6.4.0 25133 c7fe45cf4b819c5991fe208aaa96edf142730f1d)"
	.section	".note.GNU-stack","",@progbits
	.addrsig
	.addrsig_sym __hip_cuid_f2f0ef6f9b998460
	.amdgpu_metadata
---
amdhsa.kernels:
  - .args:
      - .actual_access:  read_only
        .address_space:  global
        .offset:         0
        .size:           8
        .value_kind:     global_buffer
      - .actual_access:  read_only
        .address_space:  global
        .offset:         8
        .size:           8
        .value_kind:     global_buffer
      - .actual_access:  read_only
        .address_space:  global
        .offset:         16
        .size:           8
        .value_kind:     global_buffer
      - .actual_access:  read_only
        .address_space:  global
        .offset:         24
        .size:           8
        .value_kind:     global_buffer
      - .actual_access:  read_only
        .address_space:  global
        .offset:         32
        .size:           8
        .value_kind:     global_buffer
      - .offset:         40
        .size:           8
        .value_kind:     by_value
      - .address_space:  global
        .offset:         48
        .size:           8
        .value_kind:     global_buffer
      - .address_space:  global
        .offset:         56
        .size:           8
        .value_kind:     global_buffer
      - .address_space:  global
        .offset:         64
        .size:           8
        .value_kind:     global_buffer
      - .address_space:  global
        .offset:         72
        .size:           8
        .value_kind:     global_buffer
      - .offset:         80
        .size:           4
        .value_kind:     by_value
      - .address_space:  global
        .offset:         88
        .size:           8
        .value_kind:     global_buffer
      - .address_space:  global
        .offset:         96
        .size:           8
        .value_kind:     global_buffer
    .group_segment_fixed_size: 20944
    .kernarg_segment_align: 8
    .kernarg_segment_size: 104
    .language:       OpenCL C
    .language_version:
      - 2
      - 0
    .max_flat_workgroup_size: 119
    .name:           bluestein_single_back_len187_dim1_dp_op_CI_CI
    .private_segment_fixed_size: 404
    .sgpr_count:     66
    .sgpr_spill_count: 0
    .symbol:         bluestein_single_back_len187_dim1_dp_op_CI_CI.kd
    .uniform_work_group_size: 1
    .uses_dynamic_stack: false
    .vgpr_count:     256
    .vgpr_spill_count: 100
    .wavefront_size: 32
    .workgroup_processor_mode: 1
amdhsa.target:   amdgcn-amd-amdhsa--gfx1030
amdhsa.version:
  - 1
  - 2
...

	.end_amdgpu_metadata
